;; amdgpu-corpus repo=ROCm/rocFFT kind=compiled arch=gfx1030 opt=O3
	.text
	.amdgcn_target "amdgcn-amd-amdhsa--gfx1030"
	.amdhsa_code_object_version 6
	.protected	fft_rtc_back_len289_factors_17_17_wgs_119_tpt_17_half_op_CI_CI_sbcc_twdbase5_3step ; -- Begin function fft_rtc_back_len289_factors_17_17_wgs_119_tpt_17_half_op_CI_CI_sbcc_twdbase5_3step
	.globl	fft_rtc_back_len289_factors_17_17_wgs_119_tpt_17_half_op_CI_CI_sbcc_twdbase5_3step
	.p2align	8
	.type	fft_rtc_back_len289_factors_17_17_wgs_119_tpt_17_half_op_CI_CI_sbcc_twdbase5_3step,@function
fft_rtc_back_len289_factors_17_17_wgs_119_tpt_17_half_op_CI_CI_sbcc_twdbase5_3step: ; @fft_rtc_back_len289_factors_17_17_wgs_119_tpt_17_half_op_CI_CI_sbcc_twdbase5_3step
; %bb.0:
	s_clause 0x1
	s_load_dwordx8 s[8:15], s[4:5], 0x8
	s_load_dwordx2 s[28:29], s[4:5], 0x28
	s_mov_b32 s0, exec_lo
	v_cmpx_gt_u32_e32 0x60, v0
	s_cbranch_execz .LBB0_2
; %bb.1:
	v_lshlrev_b32_e32 v1, 2, v0
	s_waitcnt lgkmcnt(0)
	global_load_dword v2, v1, s[8:9]
	v_add_nc_u32_e32 v1, 0, v1
	s_waitcnt vmcnt(0)
	ds_write_b32 v1, v2 offset:8092
.LBB0_2:
	s_or_b32 exec_lo, exec_lo, s0
	s_waitcnt lgkmcnt(0)
	s_load_dwordx2 s[26:27], s[12:13], 0x8
	s_waitcnt lgkmcnt(0)
	s_add_u32 s0, s26, -1
	s_addc_u32 s1, s27, -1
	s_add_u32 s2, 0, 0x92481000
	s_addc_u32 s3, 0, 0x64
	s_mul_hi_u32 s8, s2, -7
	s_add_i32 s3, s3, 0x249248c0
	s_sub_i32 s8, s8, s2
	s_mul_i32 s16, s3, -7
	s_mul_i32 s7, s2, -7
	s_add_i32 s8, s8, s16
	s_mul_hi_u32 s9, s2, s7
	s_mul_i32 s18, s2, s8
	s_mul_hi_u32 s16, s2, s8
	s_mul_hi_u32 s17, s3, s7
	s_mul_i32 s7, s3, s7
	s_add_u32 s9, s9, s18
	s_addc_u32 s16, 0, s16
	s_mul_hi_u32 s19, s3, s8
	s_add_u32 s7, s9, s7
	s_mul_i32 s8, s3, s8
	s_addc_u32 s7, s16, s17
	s_addc_u32 s9, s19, 0
	s_add_u32 s7, s7, s8
	v_add_co_u32 v1, s2, s2, s7
	s_addc_u32 s7, 0, s9
	s_cmp_lg_u32 s2, 0
	s_addc_u32 s2, s3, s7
	v_readfirstlane_b32 s3, v1
	s_mul_i32 s8, s0, s2
	s_mul_hi_u32 s7, s0, s2
	s_mul_hi_u32 s9, s1, s2
	s_mul_i32 s2, s1, s2
	s_mul_hi_u32 s16, s0, s3
	s_mul_hi_u32 s17, s1, s3
	s_mul_i32 s3, s1, s3
	s_add_u32 s8, s16, s8
	s_addc_u32 s7, 0, s7
	s_add_u32 s3, s8, s3
	s_addc_u32 s3, s7, s17
	s_addc_u32 s7, s9, 0
	s_add_u32 s2, s3, s2
	s_addc_u32 s3, 0, s7
	s_mul_i32 s8, s2, 7
	s_add_u32 s7, s2, 1
	v_sub_co_u32 v1, s0, s0, s8
	s_mul_hi_u32 s8, s2, 7
	s_addc_u32 s9, s3, 0
	s_mul_i32 s16, s3, 7
	v_sub_co_u32 v2, s17, v1, 7
	s_add_u32 s18, s2, 2
	s_addc_u32 s19, s3, 0
	s_add_i32 s8, s8, s16
	s_cmp_lg_u32 s0, 0
	v_readfirstlane_b32 s0, v2
	s_subb_u32 s1, s1, s8
	s_cmp_lg_u32 s17, 0
	s_subb_u32 s8, s1, 0
	s_cmp_gt_u32 s0, 6
	s_cselect_b32 s0, -1, 0
	s_cmp_eq_u32 s8, 0
	v_readfirstlane_b32 s8, v1
	s_cselect_b32 s0, s0, -1
	s_cmp_lg_u32 s0, 0
	s_cselect_b32 s0, s18, s7
	s_cselect_b32 s9, s19, s9
	s_cmp_gt_u32 s8, 6
	s_cselect_b32 s7, -1, 0
	s_cmp_eq_u32 s1, 0
	s_cselect_b32 s1, s7, -1
	s_mov_b32 s7, 0
	s_cmp_lg_u32 s1, 0
	s_cselect_b32 s0, s0, s2
	s_cselect_b32 s1, s9, s3
	s_add_u32 s34, s0, 1
	s_addc_u32 s35, s1, 0
	s_mov_b64 s[8:9], 0
	v_cmp_lt_u64_e64 s0, s[6:7], s[34:35]
	s_and_b32 vcc_lo, exec_lo, s0
	s_cbranch_vccnz .LBB0_4
; %bb.3:
	v_cvt_f32_u32_e32 v1, s34
	s_sub_i32 s1, 0, s34
	s_mov_b32 s9, s7
	v_rcp_iflag_f32_e32 v1, v1
	v_mul_f32_e32 v1, 0x4f7ffffe, v1
	v_cvt_u32_f32_e32 v1, v1
	v_readfirstlane_b32 s0, v1
	s_mul_i32 s1, s1, s0
	s_mul_hi_u32 s1, s0, s1
	s_add_i32 s0, s0, s1
	s_mul_hi_u32 s0, s6, s0
	s_mul_i32 s1, s0, s34
	s_add_i32 s2, s0, 1
	s_sub_i32 s1, s6, s1
	s_sub_i32 s3, s1, s34
	s_cmp_ge_u32 s1, s34
	s_cselect_b32 s0, s2, s0
	s_cselect_b32 s1, s3, s1
	s_add_i32 s2, s0, 1
	s_cmp_ge_u32 s1, s34
	s_cselect_b32 s8, s2, s0
.LBB0_4:
	s_load_dwordx4 s[20:23], s[14:15], 0x0
	s_load_dwordx4 s[0:3], s[28:29], 0x0
	s_clause 0x1
	s_load_dwordx4 s[16:19], s[4:5], 0x60
	s_load_dwordx2 s[24:25], s[4:5], 0x0
	s_mul_i32 s4, s8, s35
	s_mul_hi_u32 s5, s8, s34
	s_mul_i32 s30, s8, s34
	s_add_i32 s5, s5, s4
	s_sub_u32 s48, s6, s30
	s_subb_u32 s4, 0, s5
	s_mul_hi_u32 s33, s48, 7
	s_mul_i32 s4, s4, 7
	v_cmp_lt_u64_e64 s36, s[10:11], 3
	s_add_i32 s33, s33, s4
	s_mul_i32 s48, s48, 7
	s_and_b32 vcc_lo, exec_lo, s36
	s_waitcnt lgkmcnt(0)
	s_mul_i32 s4, s22, s33
	s_mul_hi_u32 s5, s22, s48
	s_mul_i32 s37, s2, s33
	s_mul_hi_u32 s38, s2, s48
	s_mul_i32 s31, s23, s48
	s_mul_i32 s39, s3, s48
	s_add_i32 s4, s5, s4
	s_add_i32 s5, s38, s37
	s_mul_i32 s30, s22, s48
	s_add_i32 s31, s4, s31
	s_add_i32 s5, s5, s39
	s_mul_i32 s4, s2, s48
	s_cbranch_vccnz .LBB0_14
; %bb.5:
	s_add_u32 s36, s28, 16
	s_addc_u32 s37, s29, 0
	s_add_u32 s38, s14, 16
	s_addc_u32 s39, s15, 0
	;; [unrolled: 2-line block ×3, first 2 shown]
	s_mov_b64 s[40:41], 2
	s_mov_b32 s42, 0
.LBB0_6:                                ; =>This Inner Loop Header: Depth=1
	s_load_dwordx2 s[44:45], s[12:13], 0x0
	s_waitcnt lgkmcnt(0)
	s_or_b64 s[46:47], s[8:9], s[44:45]
	s_mov_b32 s43, s47
                                        ; implicit-def: $sgpr46_sgpr47
	s_cmp_lg_u64 s[42:43], 0
	s_mov_b32 s43, -1
	s_cbranch_scc0 .LBB0_8
; %bb.7:                                ;   in Loop: Header=BB0_6 Depth=1
	v_cvt_f32_u32_e32 v1, s44
	v_cvt_f32_u32_e32 v2, s45
	s_sub_u32 s47, 0, s44
	s_subb_u32 s49, 0, s45
	v_fmac_f32_e32 v1, 0x4f800000, v2
	v_rcp_f32_e32 v1, v1
	v_mul_f32_e32 v1, 0x5f7ffffc, v1
	v_mul_f32_e32 v2, 0x2f800000, v1
	v_trunc_f32_e32 v2, v2
	v_fmac_f32_e32 v1, 0xcf800000, v2
	v_cvt_u32_f32_e32 v2, v2
	v_cvt_u32_f32_e32 v1, v1
	v_readfirstlane_b32 s43, v2
	v_readfirstlane_b32 s46, v1
	s_mul_i32 s50, s47, s43
	s_mul_hi_u32 s52, s47, s46
	s_mul_i32 s51, s49, s46
	s_add_i32 s50, s52, s50
	s_mul_i32 s53, s47, s46
	s_add_i32 s50, s50, s51
	s_mul_hi_u32 s52, s46, s53
	s_mul_hi_u32 s54, s43, s53
	s_mul_i32 s51, s43, s53
	s_mul_hi_u32 s53, s46, s50
	s_mul_i32 s46, s46, s50
	s_mul_hi_u32 s55, s43, s50
	s_add_u32 s46, s52, s46
	s_addc_u32 s52, 0, s53
	s_add_u32 s46, s46, s51
	s_mul_i32 s50, s43, s50
	s_addc_u32 s46, s52, s54
	s_addc_u32 s51, s55, 0
	s_add_u32 s46, s46, s50
	s_addc_u32 s50, 0, s51
	v_add_co_u32 v1, s46, v1, s46
	s_cmp_lg_u32 s46, 0
	s_addc_u32 s43, s43, s50
	v_readfirstlane_b32 s46, v1
	s_mul_i32 s50, s47, s43
	s_mul_hi_u32 s51, s47, s46
	s_mul_i32 s49, s49, s46
	s_add_i32 s50, s51, s50
	s_mul_i32 s47, s47, s46
	s_add_i32 s50, s50, s49
	s_mul_hi_u32 s51, s43, s47
	s_mul_i32 s52, s43, s47
	s_mul_hi_u32 s47, s46, s47
	s_mul_hi_u32 s53, s46, s50
	s_mul_i32 s46, s46, s50
	s_mul_hi_u32 s49, s43, s50
	s_add_u32 s46, s47, s46
	s_addc_u32 s47, 0, s53
	s_add_u32 s46, s46, s52
	s_mul_i32 s50, s43, s50
	s_addc_u32 s46, s47, s51
	s_addc_u32 s47, s49, 0
	s_add_u32 s46, s46, s50
	s_addc_u32 s47, 0, s47
	v_add_co_u32 v1, s46, v1, s46
	s_cmp_lg_u32 s46, 0
	s_addc_u32 s43, s43, s47
	v_readfirstlane_b32 s46, v1
	s_mul_i32 s49, s8, s43
	s_mul_hi_u32 s47, s8, s43
	s_mul_hi_u32 s50, s9, s43
	s_mul_i32 s43, s9, s43
	s_mul_hi_u32 s51, s8, s46
	s_mul_hi_u32 s52, s9, s46
	s_mul_i32 s46, s9, s46
	s_add_u32 s49, s51, s49
	s_addc_u32 s47, 0, s47
	s_add_u32 s46, s49, s46
	s_addc_u32 s46, s47, s52
	s_addc_u32 s47, s50, 0
	s_add_u32 s46, s46, s43
	s_addc_u32 s47, 0, s47
	s_mul_hi_u32 s43, s44, s46
	s_mul_i32 s50, s44, s47
	s_mul_i32 s51, s44, s46
	s_add_i32 s43, s43, s50
	v_sub_co_u32 v1, s50, s8, s51
	s_mul_i32 s49, s45, s46
	s_add_i32 s43, s43, s49
	v_sub_co_u32 v2, s51, v1, s44
	s_sub_i32 s49, s9, s43
	s_cmp_lg_u32 s50, 0
	s_subb_u32 s49, s49, s45
	s_cmp_lg_u32 s51, 0
	v_readfirstlane_b32 s51, v2
	s_subb_u32 s49, s49, 0
	s_cmp_ge_u32 s49, s45
	s_cselect_b32 s52, -1, 0
	s_cmp_ge_u32 s51, s44
	s_cselect_b32 s51, -1, 0
	s_cmp_eq_u32 s49, s45
	s_cselect_b32 s49, s51, s52
	s_add_u32 s51, s46, 1
	s_addc_u32 s52, s47, 0
	s_add_u32 s53, s46, 2
	s_addc_u32 s54, s47, 0
	s_cmp_lg_u32 s49, 0
	s_cselect_b32 s49, s53, s51
	s_cselect_b32 s51, s54, s52
	s_cmp_lg_u32 s50, 0
	v_readfirstlane_b32 s50, v1
	s_subb_u32 s43, s9, s43
	s_cmp_ge_u32 s43, s45
	s_cselect_b32 s52, -1, 0
	s_cmp_ge_u32 s50, s44
	s_cselect_b32 s50, -1, 0
	s_cmp_eq_u32 s43, s45
	s_cselect_b32 s43, s50, s52
	s_cmp_lg_u32 s43, 0
	s_mov_b32 s43, 0
	s_cselect_b32 s47, s51, s47
	s_cselect_b32 s46, s49, s46
.LBB0_8:                                ;   in Loop: Header=BB0_6 Depth=1
	s_andn2_b32 vcc_lo, exec_lo, s43
	s_cbranch_vccnz .LBB0_10
; %bb.9:                                ;   in Loop: Header=BB0_6 Depth=1
	v_cvt_f32_u32_e32 v1, s44
	s_sub_i32 s46, 0, s44
	v_rcp_iflag_f32_e32 v1, v1
	v_mul_f32_e32 v1, 0x4f7ffffe, v1
	v_cvt_u32_f32_e32 v1, v1
	v_readfirstlane_b32 s43, v1
	s_mul_i32 s46, s46, s43
	s_mul_hi_u32 s46, s43, s46
	s_add_i32 s43, s43, s46
	s_mul_hi_u32 s43, s8, s43
	s_mul_i32 s46, s43, s44
	s_add_i32 s47, s43, 1
	s_sub_i32 s46, s8, s46
	s_sub_i32 s49, s46, s44
	s_cmp_ge_u32 s46, s44
	s_cselect_b32 s43, s47, s43
	s_cselect_b32 s46, s49, s46
	s_add_i32 s47, s43, 1
	s_cmp_ge_u32 s46, s44
	s_cselect_b32 s46, s47, s43
	s_mov_b32 s47, s42
.LBB0_10:                               ;   in Loop: Header=BB0_6 Depth=1
	s_load_dwordx2 s[50:51], s[38:39], 0x0
	s_load_dwordx2 s[52:53], s[36:37], 0x0
	s_mul_i32 s35, s44, s35
	s_mul_hi_u32 s43, s44, s34
	s_mul_i32 s49, s45, s34
	s_mul_i32 s45, s46, s45
	s_mul_hi_u32 s54, s46, s44
	s_mul_i32 s55, s47, s44
	s_add_i32 s35, s43, s35
	s_add_i32 s43, s54, s45
	s_mul_i32 s56, s46, s44
	s_add_i32 s35, s35, s49
	s_add_i32 s43, s43, s55
	s_sub_u32 s8, s8, s56
	s_subb_u32 s9, s9, s43
	s_mul_i32 s34, s44, s34
	s_waitcnt lgkmcnt(0)
	s_mul_i32 s43, s50, s9
	s_mul_hi_u32 s45, s50, s8
	s_mul_i32 s49, s51, s8
	s_add_i32 s43, s45, s43
	s_mul_i32 s50, s50, s8
	s_mul_i32 s9, s52, s9
	s_mul_hi_u32 s45, s52, s8
	s_add_i32 s43, s43, s49
	s_add_u32 s30, s50, s30
	s_addc_u32 s31, s43, s31
	s_add_i32 s9, s45, s9
	s_mul_i32 s43, s53, s8
	s_mul_i32 s8, s52, s8
	s_add_i32 s9, s9, s43
	s_add_u32 s4, s8, s4
	s_addc_u32 s5, s9, s5
	s_add_u32 s40, s40, 1
	s_addc_u32 s41, s41, 0
	s_add_u32 s36, s36, 8
	v_cmp_ge_u64_e64 s8, s[40:41], s[10:11]
	s_addc_u32 s37, s37, 0
	s_add_u32 s38, s38, 8
	s_addc_u32 s39, s39, 0
	s_add_u32 s12, s12, 8
	s_addc_u32 s13, s13, 0
	s_and_b32 vcc_lo, exec_lo, s8
	s_cbranch_vccnz .LBB0_12
; %bb.11:                               ;   in Loop: Header=BB0_6 Depth=1
	s_mov_b64 s[8:9], s[46:47]
	s_branch .LBB0_6
.LBB0_12:
	v_cmp_lt_u64_e64 s7, s[6:7], s[34:35]
	s_mov_b64 s[8:9], 0
	s_and_b32 vcc_lo, exec_lo, s7
	s_cbranch_vccnz .LBB0_14
; %bb.13:
	v_cvt_f32_u32_e32 v1, s34
	s_sub_i32 s8, 0, s34
	v_rcp_iflag_f32_e32 v1, v1
	v_mul_f32_e32 v1, 0x4f7ffffe, v1
	v_cvt_u32_f32_e32 v1, v1
	v_readfirstlane_b32 s7, v1
	s_mul_i32 s8, s8, s7
	s_mul_hi_u32 s8, s7, s8
	s_add_i32 s7, s7, s8
	s_mul_hi_u32 s7, s6, s7
	s_mul_i32 s8, s7, s34
	s_sub_i32 s6, s6, s8
	s_add_i32 s8, s7, 1
	s_sub_i32 s9, s6, s34
	s_cmp_ge_u32 s6, s34
	s_cselect_b32 s7, s8, s7
	s_cselect_b32 s6, s9, s6
	s_add_i32 s8, s7, 1
	s_cmp_ge_u32 s6, s34
	s_cselect_b32 s8, s8, s7
.LBB0_14:
	v_mul_hi_u32 v34, 0x24924925, v0
	s_lshl_b64 s[10:11], s[10:11], 3
	v_mov_b32_e32 v1, 0
	s_add_u32 s6, s28, s10
	s_addc_u32 s7, s29, s11
	s_add_u32 s12, s48, 7
	s_addc_u32 s13, s33, 0
	v_cmp_le_u64_e64 s9, s[12:13], s[26:27]
	v_mul_u32_u24_e32 v2, 7, v34
	v_lshlrev_b32_e32 v35, 2, v34
	v_add_nc_u32_e32 v33, 17, v34
	v_add_nc_u32_e32 v32, 34, v34
	;; [unrolled: 1-line block ×3, first 2 shown]
	v_sub_nc_u32_e32 v36, v0, v2
	v_add_nc_u32_e32 v31, 0x44, v34
	v_add_nc_u32_e32 v29, 0x55, v34
	v_add_nc_u32_e32 v28, 0x66, v34
	v_add_nc_u32_e32 v27, 0x77, v34
	v_add_co_u32 v2, s12, s48, v36
	v_add_co_ci_u32_e64 v3, null, s33, 0, s12
	v_mul_lo_u32 v37, 0x484, v36
	v_add_nc_u32_e32 v26, 0x88, v34
	v_add_nc_u32_e32 v24, 0x99, v34
	v_cmp_gt_u64_e32 vcc_lo, s[26:27], v[2:3]
	v_add_nc_u32_e32 v25, 0xaa, v34
	v_add_nc_u32_e32 v23, 0xbb, v34
	;; [unrolled: 1-line block ×7, first 2 shown]
	s_or_b32 s9, s9, vcc_lo
	s_and_saveexec_b32 s12, s9
	s_cbranch_execz .LBB0_16
; %bb.15:
	s_add_u32 s10, s14, s10
	s_addc_u32 s11, s15, s11
	v_mad_u64_u32 v[2:3], null, s22, v36, 0
	s_load_dwordx2 s[10:11], s[10:11], 0x0
	v_mad_u64_u32 v[4:5], null, s20, v34, 0
	v_mad_u64_u32 v[6:7], null, s20, v33, 0
	;; [unrolled: 1-line block ×8, first 2 shown]
	v_mov_b32_e32 v3, v10
	v_mad_u64_u32 v[38:39], null, s20, v27, 0
	s_waitcnt lgkmcnt(0)
	s_mul_i32 s11, s11, s8
	s_mul_hi_u32 s13, s10, s8
	s_mul_i32 s10, s10, s8
	s_add_i32 s11, s13, s11
	v_mov_b32_e32 v5, v11
	s_lshl_b64 s[10:11], s[10:11], 2
	v_lshlrev_b64 v[2:3], 2, v[2:3]
	v_mad_u64_u32 v[10:11], null, s20, v30, 0
	s_add_u32 s13, s16, s10
	s_addc_u32 s14, s17, s11
	s_lshl_b64 s[10:11], s[30:31], 2
	v_mov_b32_e32 v7, v12
	s_add_u32 s10, s13, s10
	s_addc_u32 s11, s14, s11
	v_add_co_u32 v46, vcc_lo, s10, v2
	v_add_co_ci_u32_e32 v47, vcc_lo, s11, v3, vcc_lo
	v_lshlrev_b64 v[2:3], 2, v[4:5]
	v_mad_u64_u32 v[4:5], null, s21, v32, v[9:10]
	v_lshlrev_b64 v[6:7], 2, v[6:7]
	v_mov_b32_e32 v5, v11
	v_mad_u64_u32 v[12:13], null, s20, v31, 0
	v_add_co_u32 v2, vcc_lo, v46, v2
	v_mov_b32_e32 v9, v4
	v_mad_u64_u32 v[4:5], null, s21, v30, v[5:6]
	v_add_co_ci_u32_e32 v3, vcc_lo, v47, v3, vcc_lo
	v_mov_b32_e32 v5, v13
	v_add_co_u32 v6, vcc_lo, v46, v6
	v_lshlrev_b64 v[8:9], 2, v[8:9]
	v_mov_b32_e32 v11, v4
	v_add_co_ci_u32_e32 v7, vcc_lo, v47, v7, vcc_lo
	v_mad_u64_u32 v[4:5], null, s21, v31, v[5:6]
	v_mov_b32_e32 v5, v15
	v_lshlrev_b64 v[10:11], 2, v[10:11]
	v_add_co_u32 v8, vcc_lo, v46, v8
	v_add_co_ci_u32_e32 v9, vcc_lo, v47, v9, vcc_lo
	v_mov_b32_e32 v13, v4
	v_mad_u64_u32 v[4:5], null, s21, v29, v[5:6]
	v_mov_b32_e32 v5, v17
	v_add_co_u32 v10, vcc_lo, v46, v10
	v_lshlrev_b64 v[12:13], 2, v[12:13]
	v_add_co_ci_u32_e32 v11, vcc_lo, v47, v11, vcc_lo
	v_mov_b32_e32 v15, v4
	v_mad_u64_u32 v[4:5], null, s21, v28, v[5:6]
	v_mov_b32_e32 v5, v39
	v_add_co_u32 v12, vcc_lo, v46, v12
	v_lshlrev_b64 v[14:15], 2, v[14:15]
	v_add_co_ci_u32_e32 v13, vcc_lo, v47, v13, vcc_lo
	v_mad_u64_u32 v[39:40], null, s21, v27, v[5:6]
	v_mad_u64_u32 v[40:41], null, s20, v26, 0
	v_mov_b32_e32 v17, v4
	v_add_co_u32 v4, vcc_lo, v46, v14
	v_add_co_ci_u32_e32 v5, vcc_lo, v47, v15, vcc_lo
	v_lshlrev_b64 v[14:15], 2, v[16:17]
	v_mov_b32_e32 v16, v41
	v_mad_u64_u32 v[42:43], null, s20, v24, 0
	v_lshlrev_b64 v[38:39], 2, v[38:39]
	v_mad_u64_u32 v[44:45], null, s20, v25, 0
	v_add_co_u32 v14, vcc_lo, v46, v14
	v_mad_u64_u32 v[16:17], null, s21, v26, v[16:17]
	v_add_co_ci_u32_e32 v15, vcc_lo, v47, v15, vcc_lo
	v_add_co_u32 v38, vcc_lo, v46, v38
	v_mov_b32_e32 v17, v43
	v_add_co_ci_u32_e32 v39, vcc_lo, v47, v39, vcc_lo
	s_clause 0x7
	global_load_dword v48, v[2:3], off
	global_load_dword v49, v[6:7], off
	;; [unrolled: 1-line block ×8, first 2 shown]
	v_mad_u64_u32 v[5:6], null, s20, v23, 0
	v_mov_b32_e32 v4, v45
	v_mov_b32_e32 v41, v16
	v_mad_u64_u32 v[16:17], null, s21, v24, v[17:18]
	v_mad_u64_u32 v[10:11], null, s20, v22, 0
	;; [unrolled: 1-line block ×3, first 2 shown]
	v_mov_b32_e32 v4, v6
	v_lshlrev_b64 v[2:3], 2, v[40:41]
	v_mov_b32_e32 v43, v16
	v_mad_u64_u32 v[38:39], null, s20, v20, 0
	v_mad_u64_u32 v[12:13], null, s21, v23, v[4:5]
	v_lshlrev_b64 v[8:9], 2, v[42:43]
	v_mov_b32_e32 v45, v7
	v_mad_u64_u32 v[15:16], null, s20, v21, 0
	v_add_co_u32 v2, vcc_lo, v46, v2
	v_mov_b32_e32 v4, v11
	v_mov_b32_e32 v6, v12
	v_add_co_ci_u32_e32 v3, vcc_lo, v47, v3, vcc_lo
	v_add_co_u32 v7, vcc_lo, v46, v8
	v_lshlrev_b64 v[13:14], 2, v[44:45]
	v_add_co_ci_u32_e32 v8, vcc_lo, v47, v9, vcc_lo
	v_mov_b32_e32 v9, v39
	v_mad_u64_u32 v[11:12], null, s21, v22, v[4:5]
	v_lshlrev_b64 v[5:6], 2, v[5:6]
	v_mad_u64_u32 v[40:41], null, s20, v19, 0
	v_mov_b32_e32 v4, v16
	v_add_co_u32 v12, vcc_lo, v46, v13
	v_mad_u64_u32 v[42:43], null, s21, v20, v[9:10]
	v_add_co_ci_u32_e32 v13, vcc_lo, v47, v14, vcc_lo
	v_mad_u64_u32 v[43:44], null, s20, v18, 0
	v_mad_u64_u32 v[16:17], null, s21, v21, v[4:5]
	v_add_co_u32 v4, vcc_lo, v46, v5
	v_add_co_ci_u32_e32 v5, vcc_lo, v47, v6, vcc_lo
	v_mov_b32_e32 v6, v41
	v_mov_b32_e32 v39, v42
	v_lshlrev_b64 v[9:10], 2, v[10:11]
	v_lshlrev_b64 v[14:15], 2, v[15:16]
	v_add3_u32 v11, 0, v37, v35
	v_mad_u64_u32 v[41:42], null, s21, v19, v[6:7]
	v_mov_b32_e32 v6, v44
	v_add_co_u32 v9, vcc_lo, v46, v9
	v_lshlrev_b64 v[38:39], 2, v[38:39]
	v_add_co_ci_u32_e32 v10, vcc_lo, v47, v10, vcc_lo
	v_mad_u64_u32 v[16:17], null, s21, v18, v[6:7]
	v_add_co_u32 v14, vcc_lo, v46, v14
	v_add_co_ci_u32_e32 v15, vcc_lo, v47, v15, vcc_lo
	v_lshlrev_b64 v[40:41], 2, v[40:41]
	v_mov_b32_e32 v44, v16
	v_add_co_u32 v16, vcc_lo, v46, v38
	v_add_co_ci_u32_e32 v17, vcc_lo, v47, v39, vcc_lo
	v_lshlrev_b64 v[38:39], 2, v[43:44]
	v_add_co_u32 v40, vcc_lo, v46, v40
	v_add_co_ci_u32_e32 v41, vcc_lo, v47, v41, vcc_lo
	v_add_co_u32 v38, vcc_lo, v46, v38
	v_add_co_ci_u32_e32 v39, vcc_lo, v47, v39, vcc_lo
	s_clause 0x8
	global_load_dword v2, v[2:3], off
	global_load_dword v3, v[7:8], off
	;; [unrolled: 1-line block ×9, first 2 shown]
	s_waitcnt vmcnt(15)
	ds_write2_b32 v11, v48, v49 offset1:17
	s_waitcnt vmcnt(13)
	ds_write2_b32 v11, v50, v51 offset0:34 offset1:51
	s_waitcnt vmcnt(11)
	ds_write2_b32 v11, v52, v53 offset0:68 offset1:85
	;; [unrolled: 2-line block ×7, first 2 shown]
	s_waitcnt vmcnt(0)
	ds_write_b32 v11, v10 offset:1088
.LBB0_16:
	s_or_b32 exec_lo, exec_lo, s12
	s_add_u32 s10, 0, 0x92481000
	s_addc_u32 s11, 0, 0x64
	s_mul_hi_u32 s13, s10, -7
	s_add_i32 s11, s11, 0x249248c0
	s_sub_i32 s13, s13, s10
	s_mul_i32 s14, s11, -7
	s_mul_i32 s12, s10, -7
	s_add_i32 s13, s13, s14
	s_mul_hi_u32 s15, s11, s12
	s_mul_i32 s14, s11, s12
	s_mul_i32 s16, s10, s13
	s_mul_hi_u32 s12, s10, s12
	s_mul_hi_u32 s17, s10, s13
	s_add_u32 s12, s12, s16
	v_mul_hi_u32 v6, 0xf0f0f10, v0
	s_addc_u32 s16, 0, s17
	s_mul_hi_u32 s17, s11, s13
	s_add_u32 s12, s12, s14
	s_addc_u32 s12, s16, s15
	s_mul_i32 s13, s11, s13
	s_addc_u32 s14, s17, 0
	s_add_u32 s12, s12, s13
	s_load_dwordx2 s[6:7], s[6:7], 0x0
	v_add_co_u32 v4, s10, s10, s12
	s_addc_u32 s12, 0, s14
	s_cmp_lg_u32 s10, 0
	v_add_co_u32 v39, s10, s48, v6
	s_addc_u32 s11, s11, s12
	v_add_co_ci_u32_e64 v7, null, s33, 0, s10
	v_mad_u64_u32 v[2:3], null, v39, s11, 0
	v_mul_hi_u32 v8, v39, v4
	v_mad_u64_u32 v[4:5], null, v7, v4, 0
	s_waitcnt lgkmcnt(0)
	s_barrier
	buffer_gl0_inv
	v_mov_b32_e32 v53, 0x31e1
	v_mov_b32_e32 v46, 0xb964
	v_add_co_u32 v8, vcc_lo, v8, v2
	v_add_co_ci_u32_e32 v9, vcc_lo, 0, v3, vcc_lo
	v_mad_u64_u32 v[2:3], null, v7, s11, 0
	v_add_co_u32 v4, vcc_lo, v8, v4
	v_add_co_ci_u32_e32 v4, vcc_lo, v9, v5, vcc_lo
	v_mov_b32_e32 v48, 0xbb29
	v_mov_b32_e32 v44, 0x39e9
	v_add_co_ci_u32_e32 v3, vcc_lo, 0, v3, vcc_lo
	v_add_co_u32 v2, vcc_lo, v4, v2
	v_mov_b32_e32 v49, 0xbbf7
	v_add_co_ci_u32_e32 v4, vcc_lo, 0, v3, vcc_lo
	v_mad_u64_u32 v[2:3], null, v2, 7, 0
	v_mov_b32_e32 v45, 0xba62
	v_mov_b32_e32 v43, 0x3722
	;; [unrolled: 1-line block ×6, first 2 shown]
	v_mad_u64_u32 v[3:4], null, v4, 7, v[3:4]
	v_sub_co_u32 v2, vcc_lo, v39, v2
	v_mov_b32_e32 v115, 0xb836
	s_add_i32 s10, 0, 0x1f9c
	v_sub_co_ci_u32_e32 v3, vcc_lo, v7, v3, vcc_lo
	v_sub_co_u32 v4, vcc_lo, v2, 7
	v_subrev_co_ci_u32_e32 v5, vcc_lo, 0, v3, vcc_lo
	v_cmp_lt_u32_e32 vcc_lo, 6, v4
	v_cndmask_b32_e64 v7, 0, -1, vcc_lo
	v_cmp_lt_u32_e32 vcc_lo, 6, v2
	v_cndmask_b32_e64 v8, 0, -1, vcc_lo
	v_cmp_eq_u32_e32 vcc_lo, 0, v5
	v_cndmask_b32_e32 v5, -1, v7, vcc_lo
	v_cmp_eq_u32_e32 vcc_lo, 0, v3
	v_add_nc_u32_e32 v7, -7, v4
	v_cndmask_b32_e32 v3, -1, v8, vcc_lo
	v_cmp_ne_u32_e32 vcc_lo, 0, v5
	v_mul_u32_u24_e32 v5, 17, v6
	v_cndmask_b32_e32 v4, v4, v7, vcc_lo
	v_cmp_ne_u32_e32 vcc_lo, 0, v3
	v_sub_nc_u32_e32 v40, v0, v5
	v_cndmask_b32_e32 v2, v2, v4, vcc_lo
	v_mul_u32_u24_e32 v0, 0x121, v2
	v_lshlrev_b32_e32 v2, 2, v40
	v_lshlrev_b32_e32 v0, 2, v0
	v_add_nc_u32_e32 v59, 0, v0
	v_add3_u32 v38, 0, v2, v0
	ds_read2_b32 v[4:5], v38 offset0:221 offset1:238
	ds_read2_b32 v[10:11], v38 offset0:51 offset1:68
	v_add_nc_u32_e32 v41, v59, v2
	v_add_nc_u32_e32 v42, 0x200, v38
	ds_read2_b32 v[6:7], v38 offset0:187 offset1:204
	ds_read2_b32 v[14:15], v38 offset0:85 offset1:102
	ds_read2_b32 v[12:13], v38 offset0:119 offset1:136
	ds_read2_b32 v[8:9], v38 offset0:153 offset1:170
	ds_read2_b32 v[16:17], v38 offset0:17 offset1:34
	ds_read_b32 v0, v41
	ds_read2_b32 v[2:3], v42 offset0:127 offset1:144
	s_waitcnt lgkmcnt(0)
	s_barrier
	buffer_gl0_inv
	v_pk_add_f16 v67, v11, v4 neg_lo:[0,1] neg_hi:[0,1]
	v_pk_add_f16 v72, v4, v11
	v_pk_add_f16 v71, v10, v5 neg_lo:[0,1] neg_hi:[0,1]
	v_pk_add_f16 v63, v15, v6 neg_lo:[0,1] neg_hi:[0,1]
	v_pk_add_f16 v54, v0, v16
	v_pk_add_f16 v66, v6, v15
	v_pk_mul_f16 v55, 0xbbf7, v67 op_sel_hi:[0,1]
	v_pk_add_f16 v51, v12, v9 neg_lo:[0,1] neg_hi:[0,1]
	v_pk_mul_f16 v68, 0xba62, v63 op_sel_hi:[0,1]
	v_pk_add_f16 v82, v54, v17
	v_pk_add_f16 v75, v16, v3 neg_lo:[0,1] neg_hi:[0,1]
	v_pk_fma_f16 v58, 0x2de8, v72, v55 op_sel:[0,0,1] op_sel_hi:[0,1,0]
	v_pk_fma_f16 v60, 0x2de8, v72, v55 op_sel:[0,0,1] op_sel_hi:[0,1,0] neg_lo:[0,0,1] neg_hi:[0,0,1]
	v_pk_fma_f16 v54, 0xb8d2, v66, v68 op_sel:[0,0,1] op_sel_hi:[0,1,0]
	v_pk_fma_f16 v55, 0xb8d2, v66, v68 op_sel:[0,0,1] op_sel_hi:[0,1,0] neg_lo:[0,0,1] neg_hi:[0,0,1]
	v_pk_add_f16 v68, v82, v10
	v_pk_add_f16 v64, v9, v12
	;; [unrolled: 1-line block ×3, first 2 shown]
	v_pk_add_f16 v74, v17, v2 neg_lo:[0,1] neg_hi:[0,1]
	v_pk_mul_f16 v70, 0xb836, v51 op_sel_hi:[0,1]
	v_pk_add_f16 v11, v68, v11
	v_pk_mul_f16 v83, 0xb5c8, v75 op_sel_hi:[0,1]
	v_pk_add_f16 v76, v2, v17
	v_mul_f16_sdwa v88, v71, v53 dst_sel:DWORD dst_unused:UNUSED_PAD src0_sel:WORD_1 src1_sel:DWORD
	v_pk_mul_f16 v84, 0xb964, v74 op_sel_hi:[0,1]
	v_pk_add_f16 v11, v11, v14
	v_pk_fma_f16 v17, 0xbacd, v64, v70 op_sel:[0,0,1] op_sel_hi:[0,1,0]
	v_pk_fma_f16 v53, 0xbacd, v64, v70 op_sel:[0,0,1] op_sel_hi:[0,1,0] neg_lo:[0,0,1] neg_hi:[0,0,1]
	v_pk_fma_f16 v68, 0x3b76, v77, v83 op_sel:[0,0,1] op_sel_hi:[0,1,0]
	v_pk_fma_f16 v70, 0x3b76, v77, v83 op_sel:[0,0,1] op_sel_hi:[0,1,0] neg_lo:[0,0,1] neg_hi:[0,0,1]
	v_pk_add_f16 v15, v11, v15
	v_pk_add_f16 v73, v5, v10
	;; [unrolled: 1-line block ×3, first 2 shown]
	v_pk_add_f16 v65, v14, v7 neg_lo:[0,1] neg_hi:[0,1]
	v_pk_mul_f16 v16, 0xbb29, v71 op_sel_hi:[0,1]
	v_pk_add_f16 v12, v15, v12
	v_pk_fma_f16 v11, 0x39e9, v76, v84 op_sel:[0,0,1] op_sel_hi:[0,1,0]
	v_pk_fma_f16 v14, 0x39e9, v76, v84 op_sel:[0,0,1] op_sel_hi:[0,1,0] neg_lo:[0,0,1] neg_hi:[0,0,1]
	v_bfi_b32 v84, 0xffff, v68, v70
	v_pk_add_f16 v52, v8, v13
	v_pk_add_f16 v12, v12, v13
	v_pk_add_f16 v50, v13, v8 neg_lo:[0,1] neg_hi:[0,1]
	v_pk_fma_f16 v61, 0x3722, v73, v16 op_sel:[0,0,1] op_sel_hi:[0,1,0]
	v_pk_fma_f16 v62, 0x3722, v73, v16 op_sel:[0,0,1] op_sel_hi:[0,1,0] neg_lo:[0,0,1] neg_hi:[0,0,1]
	v_bfi_b32 v100, 0xffff, v11, v14
	v_pk_add_f16 v84, v0, v84
	v_pk_add_f16 v8, v12, v8
	v_pk_mul_f16 v57, 0xbbb2, v65 op_sel_hi:[0,1]
	v_bfi_b32 v83, 0xffff, v61, v62
	v_bfi_b32 v15, 0xffff, v58, v60
	v_pk_add_f16 v84, v100, v84
	v_pk_add_f16 v8, v8, v9
	v_pk_fma_f16 v56, 0xb461, v69, v57 op_sel:[0,0,1] op_sel_hi:[0,1,0]
	v_pk_fma_f16 v57, 0xb461, v69, v57 op_sel:[0,0,1] op_sel_hi:[0,1,0] neg_lo:[0,0,1] neg_hi:[0,0,1]
	v_mul_f16_sdwa v92, v75, v46 dst_sel:DWORD dst_unused:UNUSED_PAD src0_sel:WORD_1 src1_sel:DWORD
	v_pk_add_f16 v83, v83, v84
	v_pk_add_f16 v6, v8, v6
	v_mul_f16_sdwa v94, v75, v48 dst_sel:DWORD dst_unused:UNUSED_PAD src0_sel:WORD_1 src1_sel:DWORD
	v_bfi_b32 v85, 0xffff, v56, v57
	v_pk_mul_f16 v81, 0xb1e1, v50 op_sel_hi:[0,1]
	v_pk_add_f16 v15, v15, v83
	v_pk_add_f16 v6, v6, v7
	v_mul_f16_sdwa v93, v77, v44 dst_sel:DWORD dst_unused:UNUSED_PAD src0_sel:WORD_1 src1_sel:DWORD
	v_mul_f16_sdwa v96, v74, v49 dst_sel:DWORD dst_unused:UNUSED_PAD src0_sel:WORD_1 src1_sel:DWORD
	;; [unrolled: 1-line block ×3, first 2 shown]
	v_bfi_b32 v13, 0xffff, v54, v55
	v_fmamk_f16 v12, v77, 0x39e9, v92
	v_fmamk_f16 v9, v77, 0x3722, v94
	v_pk_add_f16 v15, v85, v15
	v_pk_add_f16 v4, v6, v4
	v_mul_f16_sdwa v86, v71, v45 dst_sel:DWORD dst_unused:UNUSED_PAD src0_sel:WORD_1 src1_sel:DWORD
	v_pk_fma_f16 v10, 0xbbdd, v52, v81 op_sel:[0,0,1] op_sel_hi:[0,1,0]
	v_pk_fma_f16 v16, 0xbbdd, v52, v81 op_sel:[0,0,1] op_sel_hi:[0,1,0] neg_lo:[0,0,1] neg_hi:[0,0,1]
	v_mul_f16_sdwa v95, v77, v43 dst_sel:DWORD dst_unused:UNUSED_PAD src0_sel:WORD_1 src1_sel:DWORD
	v_bfi_b32 v101, 0xffff, v17, v53
	v_fmamk_f16 v100, v75, 0x3964, v93
	v_fmamk_f16 v103, v76, 0x2de8, v96
	;; [unrolled: 1-line block ×3, first 2 shown]
	v_add_f16_e32 v12, v0, v12
	v_add_f16_e32 v9, v0, v9
	v_pk_add_f16 v13, v13, v15
	v_pk_add_f16 v4, v4, v5
	v_mul_f16_sdwa v90, v67, v80 dst_sel:DWORD dst_unused:UNUSED_PAD src0_sel:WORD_1 src1_sel:DWORD
	v_mul_f16_sdwa v97, v76, v47 dst_sel:DWORD dst_unused:UNUSED_PAD src0_sel:WORD_1 src1_sel:DWORD
	;; [unrolled: 1-line block ×3, first 2 shown]
	v_fmamk_f16 v81, v73, 0xb8d2, v86
	v_bfi_b32 v102, 0xffff, v10, v16
	v_fmamk_f16 v8, v75, 0x3b29, v95
	v_add_f16_sdwa v7, v0, v100 dst_sel:DWORD dst_unused:UNUSED_PAD src0_sel:WORD_1 src1_sel:DWORD
	v_add_f16_e32 v6, v103, v12
	v_add_f16_e32 v9, v104, v9
	v_pk_add_f16 v12, v101, v13
	v_pk_add_f16 v2, v4, v2
	v_fmamk_f16 v4, v73, 0xbbdd, v88
	v_mov_b32_e32 v100, 0x3bb2
	v_mul_f16_sdwa v87, v73, v78 dst_sel:DWORD dst_unused:UNUSED_PAD src0_sel:WORD_1 src1_sel:DWORD
	v_mul_f16_sdwa v89, v73, v79 dst_sel:DWORD dst_unused:UNUSED_PAD src0_sel:WORD_1 src1_sel:DWORD
	v_fmamk_f16 v84, v74, 0x3bf7, v97
	v_fmamk_f16 v83, v74, 0x3a62, v99
	v_add_f16_sdwa v8, v0, v8 dst_sel:DWORD dst_unused:UNUSED_PAD src0_sel:WORD_1 src1_sel:DWORD
	v_add_f16_e32 v6, v81, v6
	v_pk_add_f16 v15, v102, v12
	v_fmamk_f16 v12, v72, 0xbbdd, v90
	v_add_f16_e32 v9, v4, v9
	v_mul_f16_sdwa v101, v67, v100 dst_sel:DWORD dst_unused:UNUSED_PAD src0_sel:WORD_1 src1_sel:DWORD
	v_mov_b32_e32 v4, 0xb461
	v_mul_f16_sdwa v91, v72, v79 dst_sel:DWORD dst_unused:UNUSED_PAD src0_sel:WORD_1 src1_sel:DWORD
	v_fmamk_f16 v82, v71, 0x3a62, v87
	v_add_f16_e32 v7, v84, v7
	v_add_f16_e32 v5, v83, v8
	v_fmamk_f16 v8, v71, 0xb1e1, v89
	v_add_f16_e32 v6, v12, v6
	v_fmamk_f16 v12, v72, 0xb461, v101
	v_mov_b32_e32 v102, 0x3836
	v_mul_f16_sdwa v103, v72, v4 dst_sel:DWORD dst_unused:UNUSED_PAD src0_sel:WORD_1 src1_sel:DWORD
	v_add_f16_e32 v7, v82, v7
	v_fmamk_f16 v13, v67, 0x31e1, v91
	v_add_f16_e32 v8, v8, v5
	v_mov_b32_e32 v85, 0xbacd
	v_add_f16_e32 v9, v12, v9
	v_mul_f16_sdwa v104, v65, v102 dst_sel:DWORD dst_unused:UNUSED_PAD src0_sel:WORD_1 src1_sel:DWORD
	v_fmamk_f16 v12, v67, 0xbbb2, v103
	v_mul_f16_sdwa v107, v69, v44 dst_sel:DWORD dst_unused:UNUSED_PAD src0_sel:WORD_1 src1_sel:DWORD
	v_add_f16_e32 v7, v13, v7
	v_mov_b32_e32 v5, 0x3964
	v_mul_f16_sdwa v105, v69, v85 dst_sel:DWORD dst_unused:UNUSED_PAD src0_sel:WORD_1 src1_sel:DWORD
	v_fmamk_f16 v13, v69, 0xbacd, v104
	v_add_f16_e32 v8, v12, v8
	v_fmamk_f16 v12, v65, 0xb964, v107
	v_mul_f16_sdwa v106, v65, v5 dst_sel:DWORD dst_unused:UNUSED_PAD src0_sel:WORD_1 src1_sel:DWORD
	v_fmamk_f16 v81, v65, 0xb836, v105
	v_add_f16_e32 v84, v13, v6
	v_mul_f16_sdwa v108, v63, v100 dst_sel:DWORD dst_unused:UNUSED_PAD src0_sel:WORD_1 src1_sel:DWORD
	v_add_f16_e32 v8, v12, v8
	v_mov_b32_e32 v13, 0xb5c8
	v_mov_b32_e32 v12, 0x3b76
	v_mov_b32_e32 v6, 0x3b29
	v_fmamk_f16 v82, v69, 0x39e9, v106
	v_add_f16_e32 v7, v81, v7
	v_fmamk_f16 v81, v66, 0xb461, v108
	v_mul_f16_sdwa v109, v66, v4 dst_sel:DWORD dst_unused:UNUSED_PAD src0_sel:WORD_1 src1_sel:DWORD
	v_mul_f16_sdwa v110, v63, v13 dst_sel:DWORD dst_unused:UNUSED_PAD src0_sel:WORD_1 src1_sel:DWORD
	;; [unrolled: 1-line block ×4, first 2 shown]
	v_add_f16_e32 v9, v82, v9
	v_add_f16_e32 v81, v81, v84
	v_fmamk_f16 v82, v63, 0xbbb2, v109
	v_fmamk_f16 v84, v66, 0x3b76, v110
	;; [unrolled: 1-line block ×4, first 2 shown]
	v_pk_add_f16 v114, v2, v3
	v_add_f16_e32 v2, v82, v7
	v_add_f16_e32 v3, v84, v9
	;; [unrolled: 1-line block ×4, first 2 shown]
	v_mul_f16_sdwa v84, v51, v49 dst_sel:DWORD dst_unused:UNUSED_PAD src0_sel:WORD_1 src1_sel:DWORD
	v_mul_f16_sdwa v82, v64, v47 dst_sel:DWORD dst_unused:UNUSED_PAD src0_sel:WORD_1 src1_sel:DWORD
	v_mov_b32_e32 v113, 0x35c8
	v_mul_f16_sdwa v81, v64, v43 dst_sel:DWORD dst_unused:UNUSED_PAD src0_sel:WORD_1 src1_sel:DWORD
	v_mul_f16_sdwa v7, v50, v115 dst_sel:DWORD dst_unused:UNUSED_PAD src0_sel:WORD_1 src1_sel:DWORD
	v_fmamk_f16 v117, v64, 0x2de8, v84
	v_fmamk_f16 v118, v51, 0x3bf7, v82
	v_mul_f16_sdwa v9, v50, v113 dst_sel:DWORD dst_unused:UNUSED_PAD src0_sel:WORD_1 src1_sel:DWORD
	v_fmamk_f16 v116, v51, 0xbb29, v81
	v_fmamk_f16 v120, v52, 0xbacd, v7
	v_add_f16_e32 v117, v117, v3
	v_add_f16_e32 v118, v118, v8
	v_fmamk_f16 v119, v52, 0x3b76, v9
	v_mul_f16_sdwa v3, v52, v85 dst_sel:DWORD dst_unused:UNUSED_PAD src0_sel:WORD_1 src1_sel:DWORD
	v_mul_f16_sdwa v8, v52, v12 dst_sel:DWORD dst_unused:UNUSED_PAD src0_sel:WORD_1 src1_sel:DWORD
	v_add_f16_e32 v116, v116, v2
	v_mad_i32_i24 v2, 0x44, v40, v59
	v_add_f16_e32 v59, v119, v112
	v_add_f16_e32 v112, v120, v117
	v_fmamk_f16 v117, v50, 0x3836, v3
	v_fmamk_f16 v119, v50, 0xb5c8, v8
	v_fma_f16 v92, v77, 0x39e9, -v92
	ds_write2_b32 v2, v114, v15 offset1:1
	v_fmac_f16_e32 v93, 0xb964, v75
	v_add_f16_e32 v117, v117, v118
	v_add_f16_e32 v116, v119, v116
	v_add_f16_e32 v92, v0, v92
	v_fma_f16 v96, v76, 0x2de8, -v96
	v_add_f16_sdwa v93, v0, v93 dst_sel:DWORD dst_unused:UNUSED_PAD src0_sel:WORD_1 src1_sel:DWORD
	v_pack_b32_f16 v15, v112, v117
	v_pack_b32_f16 v59, v59, v116
	v_fmac_f16_e32 v97, 0xbbf7, v74
	v_fmac_f16_e32 v95, 0xbb29, v75
	;; [unrolled: 1-line block ×3, first 2 shown]
	v_mul_f16_sdwa v117, v76, v85 dst_sel:DWORD dst_unused:UNUSED_PAD src0_sel:WORD_1 src1_sel:DWORD
	ds_write2_b32 v2, v59, v15 offset0:2 offset1:3
	v_fma_f16 v15, v77, 0x3722, -v94
	v_add_f16_e32 v59, v96, v92
	v_mul_f16_sdwa v92, v75, v49 dst_sel:DWORD dst_unused:UNUSED_PAD src0_sel:WORD_1 src1_sel:DWORD
	v_add_f16_e32 v93, v97, v93
	v_fma_f16 v94, v76, 0xb8d2, -v98
	v_add_f16_e32 v15, v0, v15
	v_mul_f16_sdwa v97, v74, v80 dst_sel:DWORD dst_unused:UNUSED_PAD src0_sel:WORD_1 src1_sel:DWORD
	v_fmamk_f16 v96, v77, 0x2de8, v92
	v_add_f16_sdwa v95, v0, v95 dst_sel:DWORD dst_unused:UNUSED_PAD src0_sel:WORD_1 src1_sel:DWORD
	v_mul_f16_sdwa v98, v77, v47 dst_sel:DWORD dst_unused:UNUSED_PAD src0_sel:WORD_1 src1_sel:DWORD
	v_add_f16_e32 v94, v94, v15
	v_fmamk_f16 v112, v76, 0xbbdd, v97
	v_add_f16_e32 v96, v0, v96
	v_add_f16_e32 v95, v99, v95
	v_fmamk_f16 v15, v75, 0x3bf7, v98
	v_mul_f16_sdwa v99, v76, v79 dst_sel:DWORD dst_unused:UNUSED_PAD src0_sel:WORD_1 src1_sel:DWORD
	v_fma_f16 v92, v77, 0x2de8, -v92
	v_add_f16_e32 v96, v112, v96
	v_fmac_f16_e32 v98, 0xbbf7, v75
	v_add_f16_sdwa v112, v0, v15 dst_sel:DWORD dst_unused:UNUSED_PAD src0_sel:WORD_1 src1_sel:DWORD
	v_fmamk_f16 v114, v74, 0x31e1, v99
	v_mov_b32_e32 v15, 0xbbb2
	v_add_f16_e32 v92, v0, v92
	v_fma_f16 v97, v76, 0xbbdd, -v97
	v_add_f16_sdwa v98, v0, v98 dst_sel:DWORD dst_unused:UNUSED_PAD src0_sel:WORD_1 src1_sel:DWORD
	v_fmac_f16_e32 v99, 0xb1e1, v74
	v_mul_f16_sdwa v116, v75, v15 dst_sel:DWORD dst_unused:UNUSED_PAD src0_sel:WORD_1 src1_sel:DWORD
	v_add_f16_e32 v112, v114, v112
	v_mul_f16_sdwa v114, v77, v4 dst_sel:DWORD dst_unused:UNUSED_PAD src0_sel:WORD_1 src1_sel:DWORD
	v_add_f16_e32 v92, v97, v92
	v_add_f16_e32 v97, v99, v98
	v_fmamk_f16 v98, v77, 0xb461, v116
	v_mul_f16_sdwa v99, v74, v102 dst_sel:DWORD dst_unused:UNUSED_PAD src0_sel:WORD_1 src1_sel:DWORD
	v_fmamk_f16 v102, v75, 0x3bb2, v114
	v_fma_f16 v116, v77, 0xb461, -v116
	v_fmamk_f16 v119, v74, 0xb836, v117
	v_add_f16_e32 v98, v0, v98
	v_fmamk_f16 v118, v76, 0xbacd, v99
	v_add_f16_sdwa v102, v0, v102 dst_sel:DWORD dst_unused:UNUSED_PAD src0_sel:WORD_1 src1_sel:DWORD
	v_fmac_f16_e32 v114, 0xbbb2, v75
	v_mul_f16_sdwa v120, v75, v45 dst_sel:DWORD dst_unused:UNUSED_PAD src0_sel:WORD_1 src1_sel:DWORD
	v_add_f16_e32 v116, v0, v116
	v_fma_f16 v99, v76, 0xbacd, -v99
	v_add_f16_e32 v98, v118, v98
	v_add_f16_e32 v102, v119, v102
	v_add_f16_sdwa v114, v0, v114 dst_sel:DWORD dst_unused:UNUSED_PAD src0_sel:WORD_1 src1_sel:DWORD
	v_fmamk_f16 v118, v77, 0xb8d2, v120
	v_mul_f16_sdwa v119, v74, v100 dst_sel:DWORD dst_unused:UNUSED_PAD src0_sel:WORD_1 src1_sel:DWORD
	v_mul_f16_sdwa v121, v77, v78 dst_sel:DWORD dst_unused:UNUSED_PAD src0_sel:WORD_1 src1_sel:DWORD
	v_fmac_f16_e32 v117, 0x3836, v74
	v_add_f16_e32 v99, v99, v116
	v_add_f16_e32 v116, v0, v118
	v_fmamk_f16 v118, v76, 0xb461, v119
	v_fmamk_f16 v122, v75, 0x3a62, v121
	v_add_f16_e32 v114, v117, v114
	v_mul_f16_sdwa v117, v76, v4 dst_sel:DWORD dst_unused:UNUSED_PAD src0_sel:WORD_1 src1_sel:DWORD
	v_fma_f16 v120, v77, 0xb8d2, -v120
	v_add_f16_e32 v116, v118, v116
	v_add_f16_sdwa v118, v0, v122 dst_sel:DWORD dst_unused:UNUSED_PAD src0_sel:WORD_1 src1_sel:DWORD
	v_fmac_f16_e32 v121, 0xba62, v75
	v_fmamk_f16 v122, v74, 0xbbb2, v117
	v_mul_f16_sdwa v123, v75, v115 dst_sel:DWORD dst_unused:UNUSED_PAD src0_sel:WORD_1 src1_sel:DWORD
	v_fma_f16 v86, v73, 0xb8d2, -v86
	v_add_f16_e32 v120, v0, v120
	v_fma_f16 v119, v76, 0xb461, -v119
	v_add_f16_sdwa v121, v0, v121 dst_sel:DWORD dst_unused:UNUSED_PAD src0_sel:WORD_1 src1_sel:DWORD
	v_fmac_f16_e32 v117, 0x3bb2, v74
	v_add_f16_e32 v118, v122, v118
	v_fmamk_f16 v122, v77, 0xbacd, v123
	v_mul_f16_sdwa v124, v77, v85 dst_sel:DWORD dst_unused:UNUSED_PAD src0_sel:WORD_1 src1_sel:DWORD
	v_add_f16_e32 v59, v86, v59
	v_fmac_f16_e32 v87, 0xba62, v71
	v_mul_f16_sdwa v86, v71, v100 dst_sel:DWORD dst_unused:UNUSED_PAD src0_sel:WORD_1 src1_sel:DWORD
	v_fma_f16 v88, v73, 0xbbdd, -v88
	v_fmac_f16_e32 v89, 0x31e1, v71
	v_mul_f16_sdwa v100, v73, v4 dst_sel:DWORD dst_unused:UNUSED_PAD src0_sel:WORD_1 src1_sel:DWORD
	v_add_f16_e32 v119, v119, v120
	v_add_f16_e32 v117, v117, v121
	v_mul_f16_sdwa v120, v74, v6 dst_sel:DWORD dst_unused:UNUSED_PAD src0_sel:WORD_1 src1_sel:DWORD
	v_add_f16_e32 v121, v0, v122
	v_fmamk_f16 v122, v75, 0x3836, v124
	v_mul_f16_sdwa v125, v76, v43 dst_sel:DWORD dst_unused:UNUSED_PAD src0_sel:WORD_1 src1_sel:DWORD
	v_fma_f16 v123, v77, 0xbacd, -v123
	v_fmac_f16_e32 v124, 0xb836, v75
	v_add_f16_e32 v87, v87, v93
	v_fmamk_f16 v93, v73, 0xb461, v86
	v_add_f16_e32 v88, v88, v94
	v_add_f16_e32 v89, v89, v95
	v_fmamk_f16 v94, v71, 0xbbb2, v100
	v_mul_f16_sdwa v95, v71, v5 dst_sel:DWORD dst_unused:UNUSED_PAD src0_sel:WORD_1 src1_sel:DWORD
	v_fmamk_f16 v126, v76, 0x3722, v120
	v_fmamk_f16 v127, v74, 0xbb29, v125
	v_add_f16_e32 v123, v0, v123
	v_fma_f16 v120, v76, 0x3722, -v120
	v_add_f16_sdwa v124, v0, v124 dst_sel:DWORD dst_unused:UNUSED_PAD src0_sel:WORD_1 src1_sel:DWORD
	v_fmac_f16_e32 v125, 0x3b29, v74
	v_add_f16_e32 v93, v93, v96
	v_add_f16_e32 v94, v94, v112
	v_fmamk_f16 v96, v73, 0x39e9, v95
	v_mul_f16_sdwa v112, v73, v44 dst_sel:DWORD dst_unused:UNUSED_PAD src0_sel:WORD_1 src1_sel:DWORD
	v_add_f16_e32 v120, v120, v123
	v_add_f16_e32 v123, v125, v124
	v_mul_f16_sdwa v124, v73, v12 dst_sel:DWORD dst_unused:UNUSED_PAD src0_sel:WORD_1 src1_sel:DWORD
	v_add_f16_e32 v96, v96, v98
	v_fmamk_f16 v98, v71, 0xb964, v112
	v_fma_f16 v90, v72, 0xbbdd, -v90
	v_mul_f16_sdwa v113, v67, v113 dst_sel:DWORD dst_unused:UNUSED_PAD src0_sel:WORD_1 src1_sel:DWORD
	v_fma_f16 v86, v73, 0xb461, -v86
	v_fmac_f16_e32 v100, 0x3bb2, v71
	v_add_f16_e32 v98, v98, v102
	v_fmamk_f16 v102, v71, 0x35c8, v124
	v_add_f16_e32 v59, v90, v59
	v_fmac_f16_e32 v91, 0xb1e1, v67
	v_fma_f16 v90, v72, 0xb461, -v101
	v_fmac_f16_e32 v103, 0x3bb2, v67
	v_add_f16_e32 v102, v102, v118
	v_fmamk_f16 v101, v72, 0x3b76, v113
	v_mul_f16_sdwa v118, v72, v12 dst_sel:DWORD dst_unused:UNUSED_PAD src0_sel:WORD_1 src1_sel:DWORD
	v_add_f16_e32 v86, v86, v92
	v_add_f16_e32 v92, v100, v97
	v_mul_f16_sdwa v97, v71, v13 dst_sel:DWORD dst_unused:UNUSED_PAD src0_sel:WORD_1 src1_sel:DWORD
	v_fma_f16 v95, v73, 0x39e9, -v95
	v_fmac_f16_e32 v112, 0x3964, v71
	v_add_f16_e32 v87, v91, v87
	v_add_f16_e32 v88, v90, v88
	;; [unrolled: 1-line block ×4, first 2 shown]
	v_fmamk_f16 v91, v67, 0xb5c8, v118
	v_mul_f16_sdwa v93, v67, v48 dst_sel:DWORD dst_unused:UNUSED_PAD src0_sel:WORD_1 src1_sel:DWORD
	v_fma_f16 v101, v72, 0x3b76, -v113
	v_mul_f16_sdwa v103, v72, v43 dst_sel:DWORD dst_unused:UNUSED_PAD src0_sel:WORD_1 src1_sel:DWORD
	v_fmamk_f16 v100, v73, 0x3b76, v97
	v_add_f16_e32 v95, v95, v99
	v_add_f16_e32 v99, v112, v114
	;; [unrolled: 1-line block ×3, first 2 shown]
	v_fmamk_f16 v94, v72, 0x3722, v93
	v_add_f16_e32 v86, v101, v86
	v_fmamk_f16 v101, v67, 0x3b29, v103
	v_mul_f16_sdwa v113, v67, v115 dst_sel:DWORD dst_unused:UNUSED_PAD src0_sel:WORD_1 src1_sel:DWORD
	v_fma_f16 v93, v72, 0x3722, -v93
	v_fmac_f16_e32 v103, 0xbb29, v67
	v_add_f16_e32 v100, v100, v116
	v_mul_f16_sdwa v49, v71, v49 dst_sel:DWORD dst_unused:UNUSED_PAD src0_sel:WORD_1 src1_sel:DWORD
	v_add_f16_e32 v94, v94, v96
	v_add_f16_e32 v96, v101, v98
	v_fmamk_f16 v98, v72, 0xbacd, v113
	v_mul_f16_sdwa v101, v72, v85 dst_sel:DWORD dst_unused:UNUSED_PAD src0_sel:WORD_1 src1_sel:DWORD
	v_add_f16_e32 v93, v93, v95
	v_add_f16_e32 v95, v103, v99
	v_mov_b32_e32 v99, 0x3a62
	v_fmamk_f16 v114, v73, 0x2de8, v49
	v_fma_f16 v49, v73, 0x2de8, -v49
	v_add_f16_e32 v98, v98, v100
	v_fmamk_f16 v100, v67, 0x3836, v101
	v_fma_f16 v103, v72, 0xbacd, -v113
	v_mul_f16_sdwa v113, v67, v99 dst_sel:DWORD dst_unused:UNUSED_PAD src0_sel:WORD_1 src1_sel:DWORD
	v_fma_f16 v104, v69, 0xbacd, -v104
	v_add_f16_e32 v49, v49, v120
	v_add_f16_e32 v100, v100, v102
	v_mul_f16_sdwa v48, v65, v48 dst_sel:DWORD dst_unused:UNUSED_PAD src0_sel:WORD_1 src1_sel:DWORD
	v_fmamk_f16 v102, v72, 0xb8d2, v113
	v_fma_f16 v113, v72, 0xb8d2, -v113
	v_add_f16_e32 v59, v104, v59
	v_fmac_f16_e32 v105, 0x3836, v65
	v_mul_f16_sdwa v104, v69, v43 dst_sel:DWORD dst_unused:UNUSED_PAD src0_sel:WORD_1 src1_sel:DWORD
	v_add_f16_e32 v121, v126, v121
	v_fmac_f16_e32 v118, 0x35c8, v67
	v_add_f16_e32 v49, v113, v49
	v_fma_f16 v106, v69, 0x39e9, -v106
	v_fmamk_f16 v113, v69, 0x3722, v48
	v_add_f16_e32 v87, v105, v87
	v_fmamk_f16 v105, v65, 0x3b29, v104
	v_fma_f16 v97, v73, 0x3b76, -v97
	v_fmac_f16_e32 v124, 0xb5c8, v71
	v_add_f16_e32 v114, v114, v121
	v_add_f16_e32 v92, v118, v92
	v_fmac_f16_e32 v107, 0x3964, v65
	v_add_f16_e32 v88, v106, v88
	v_add_f16_e32 v90, v113, v90
	v_mul_f16_sdwa v106, v65, v80 dst_sel:DWORD dst_unused:UNUSED_PAD src0_sel:WORD_1 src1_sel:DWORD
	v_add_f16_e32 v91, v105, v91
	v_fma_f16 v48, v69, 0x3722, -v48
	v_fmac_f16_e32 v104, 0xbb29, v65
	v_mov_b32_e32 v105, 0x3bf7
	v_mul_f16_sdwa v113, v69, v79 dst_sel:DWORD dst_unused:UNUSED_PAD src0_sel:WORD_1 src1_sel:DWORD
	v_add_f16_sdwa v122, v0, v122 dst_sel:DWORD dst_unused:UNUSED_PAD src0_sel:WORD_1 src1_sel:DWORD
	v_mul_f16_sdwa v112, v73, v47 dst_sel:DWORD dst_unused:UNUSED_PAD src0_sel:WORD_1 src1_sel:DWORD
	v_add_f16_e32 v97, v97, v119
	v_add_f16_e32 v116, v124, v117
	v_fmac_f16_e32 v101, 0xb836, v67
	v_add_f16_e32 v102, v102, v114
	v_add_f16_e32 v89, v107, v89
	v_fmamk_f16 v107, v69, 0xbbdd, v106
	v_add_f16_e32 v48, v48, v86
	v_add_f16_e32 v86, v104, v92
	v_mul_f16_sdwa v92, v65, v105 dst_sel:DWORD dst_unused:UNUSED_PAD src0_sel:WORD_1 src1_sel:DWORD
	v_fmamk_f16 v104, v65, 0x31e1, v113
	v_fma_f16 v106, v69, 0xbbdd, -v106
	v_mul_f16_sdwa v114, v69, v47 dst_sel:DWORD dst_unused:UNUSED_PAD src0_sel:WORD_1 src1_sel:DWORD
	v_add_f16_e32 v122, v127, v122
	v_fmamk_f16 v117, v71, 0x3bf7, v112
	v_mul_f16_sdwa v118, v72, v78 dst_sel:DWORD dst_unused:UNUSED_PAD src0_sel:WORD_1 src1_sel:DWORD
	v_add_f16_e32 v97, v103, v97
	v_add_f16_e32 v101, v101, v116
	;; [unrolled: 1-line block ×3, first 2 shown]
	v_fmamk_f16 v107, v69, 0x2de8, v92
	v_add_f16_e32 v96, v104, v96
	v_add_f16_e32 v93, v106, v93
	v_fmamk_f16 v104, v65, 0xbbf7, v114
	v_fma_f16 v92, v69, 0x2de8, -v92
	v_fmac_f16_e32 v114, 0x3bf7, v65
	v_mul_f16_sdwa v106, v65, v13 dst_sel:DWORD dst_unused:UNUSED_PAD src0_sel:WORD_1 src1_sel:DWORD
	v_fmac_f16_e32 v112, 0xbbf7, v71
	v_add_f16_e32 v117, v117, v122
	v_fmamk_f16 v103, v67, 0xba62, v118
	v_add_f16_e32 v98, v107, v98
	v_mul_f16_sdwa v107, v69, v12 dst_sel:DWORD dst_unused:UNUSED_PAD src0_sel:WORD_1 src1_sel:DWORD
	v_add_f16_e32 v92, v92, v97
	v_add_f16_e32 v97, v114, v101
	v_fmamk_f16 v101, v69, 0x3b76, v106
	v_fma_f16 v106, v69, 0x3b76, -v106
	v_add_f16_e32 v112, v112, v123
	v_fmac_f16_e32 v118, 0x3a62, v67
	v_add_f16_e32 v103, v103, v117
	v_add_f16_e32 v100, v104, v100
	v_fmamk_f16 v104, v65, 0x35c8, v107
	v_add_f16_e32 v49, v106, v49
	v_fma_f16 v106, v66, 0x3b76, -v110
	v_mul_f16_sdwa v85, v66, v85 dst_sel:DWORD dst_unused:UNUSED_PAD src0_sel:WORD_1 src1_sel:DWORD
	v_add_f16_e32 v112, v118, v112
	v_fmac_f16_e32 v107, 0xb5c8, v65
	v_fma_f16 v108, v66, 0xb461, -v108
	v_add_f16_e32 v101, v101, v102
	v_add_f16_e32 v102, v104, v103
	v_mul_f16_sdwa v104, v63, v115 dst_sel:DWORD dst_unused:UNUSED_PAD src0_sel:WORD_1 src1_sel:DWORD
	v_add_f16_e32 v88, v106, v88
	v_fmamk_f16 v106, v63, 0x3836, v85
	v_mul_f16_sdwa v105, v63, v105 dst_sel:DWORD dst_unused:UNUSED_PAD src0_sel:WORD_1 src1_sel:DWORD
	v_fmac_f16_e32 v113, 0xb1e1, v65
	v_add_f16_e32 v103, v107, v112
	v_add_f16_e32 v59, v108, v59
	v_fmac_f16_e32 v109, 0x3bb2, v63
	v_fmac_f16_e32 v111, 0xb5c8, v63
	v_fmamk_f16 v107, v66, 0xbacd, v104
	v_fma_f16 v104, v66, 0xbacd, -v104
	v_fmac_f16_e32 v85, 0xb836, v63
	v_add_f16_e32 v91, v106, v91
	v_fmamk_f16 v106, v66, 0x2de8, v105
	v_mul_f16_sdwa v47, v66, v47 dst_sel:DWORD dst_unused:UNUSED_PAD src0_sel:WORD_1 src1_sel:DWORD
	v_mul_f16_sdwa v46, v63, v46 dst_sel:DWORD dst_unused:UNUSED_PAD src0_sel:WORD_1 src1_sel:DWORD
	v_fma_f16 v83, v64, 0x3722, -v83
	v_add_f16_e32 v95, v113, v95
	v_add_f16_e32 v87, v109, v87
	v_add_f16_e32 v89, v111, v89
	v_add_f16_e32 v48, v104, v48
	v_add_f16_e32 v85, v85, v86
	v_add_f16_e32 v86, v106, v94
	v_fmamk_f16 v94, v63, 0xbbf7, v47
	v_fma_f16 v104, v66, 0x2de8, -v105
	v_fmac_f16_e32 v47, 0x3bf7, v63
	v_fmamk_f16 v105, v66, 0x39e9, v46
	v_add_f16_e32 v59, v83, v59
	v_fmac_f16_e32 v81, 0x3b29, v51
	v_mul_f16_sdwa v83, v51, v99 dst_sel:DWORD dst_unused:UNUSED_PAD src0_sel:WORD_1 src1_sel:DWORD
	v_fma_f16 v84, v64, 0x2de8, -v84
	v_fmac_f16_e32 v82, 0xbbf7, v51
	v_mul_f16_sdwa v99, v64, v78 dst_sel:DWORD dst_unused:UNUSED_PAD src0_sel:WORD_1 src1_sel:DWORD
	v_mul_f16_sdwa v13, v51, v13 dst_sel:DWORD dst_unused:UNUSED_PAD src0_sel:WORD_1 src1_sel:DWORD
	v_add_f16_e32 v90, v107, v90
	v_mul_f16_sdwa v106, v66, v44 dst_sel:DWORD dst_unused:UNUSED_PAD src0_sel:WORD_1 src1_sel:DWORD
	v_add_f16_e32 v47, v47, v95
	v_add_f16_e32 v95, v105, v98
	v_mul_f16_sdwa v98, v63, v80 dst_sel:DWORD dst_unused:UNUSED_PAD src0_sel:WORD_1 src1_sel:DWORD
	v_add_f16_e32 v81, v81, v87
	v_fmamk_f16 v87, v64, 0xb8d2, v83
	v_add_f16_e32 v84, v84, v88
	v_add_f16_e32 v82, v82, v89
	v_fmamk_f16 v88, v51, 0xba62, v99
	v_fma_f16 v83, v64, 0xb8d2, -v83
	v_fmac_f16_e32 v99, 0x3a62, v51
	v_fmamk_f16 v89, v64, 0x3b76, v13
	v_mul_f16_sdwa v12, v64, v12 dst_sel:DWORD dst_unused:UNUSED_PAD src0_sel:WORD_1 src1_sel:DWORD
	v_mul_f16_sdwa v80, v51, v80 dst_sel:DWORD dst_unused:UNUSED_PAD src0_sel:WORD_1 src1_sel:DWORD
	v_add_f16_e32 v94, v94, v96
	v_add_f16_e32 v93, v104, v93
	v_fmamk_f16 v96, v63, 0x3964, v106
	v_fma_f16 v46, v66, 0x39e9, -v46
	v_fmac_f16_e32 v106, 0xb964, v63
	v_mul_f16_sdwa v104, v66, v79 dst_sel:DWORD dst_unused:UNUSED_PAD src0_sel:WORD_1 src1_sel:DWORD
	v_add_f16_e32 v87, v87, v90
	v_add_f16_e32 v88, v88, v91
	;; [unrolled: 1-line block ×5, first 2 shown]
	v_fmamk_f16 v86, v51, 0x35c8, v12
	v_fmac_f16_e32 v12, 0xb5c8, v51
	v_fmamk_f16 v89, v64, 0xbbdd, v80
	v_mul_f16_sdwa v79, v64, v79 dst_sel:DWORD dst_unused:UNUSED_PAD src0_sel:WORD_1 src1_sel:DWORD
	v_mul_f16_sdwa v90, v51, v5 dst_sel:DWORD dst_unused:UNUSED_PAD src0_sel:WORD_1 src1_sel:DWORD
	;; [unrolled: 1-line block ×3, first 2 shown]
	v_fma_f16 v9, v52, 0x3b76, -v9
	v_fmac_f16_e32 v8, 0x35c8, v50
	v_mul_f16_sdwa v5, v50, v5 dst_sel:DWORD dst_unused:UNUSED_PAD src0_sel:WORD_1 src1_sel:DWORD
	v_fmac_f16_e32 v3, 0xb836, v50
	v_mul_f16_sdwa v44, v52, v44 dst_sel:DWORD dst_unused:UNUSED_PAD src0_sel:WORD_1 src1_sel:DWORD
	v_mul_f16_sdwa v45, v50, v45 dst_sel:DWORD dst_unused:UNUSED_PAD src0_sel:WORD_1 src1_sel:DWORD
	v_add_f16_e32 v96, v96, v100
	v_add_f16_e32 v46, v46, v92
	;; [unrolled: 1-line block ×3, first 2 shown]
	v_fmamk_f16 v97, v66, 0xbbdd, v98
	v_fmamk_f16 v100, v63, 0x31e1, v104
	v_fma_f16 v98, v66, 0xbbdd, -v98
	v_add_f16_e32 v12, v12, v47
	v_add_f16_e32 v47, v89, v95
	v_fmamk_f16 v89, v51, 0x31e1, v79
	v_fma_f16 v80, v64, 0xbbdd, -v80
	v_fmac_f16_e32 v79, 0xb1e1, v51
	v_add_f16_e32 v9, v9, v59
	v_add_f16_e32 v8, v8, v81
	v_fmamk_f16 v59, v52, 0x39e9, v5
	v_add_f16_e32 v3, v3, v82
	v_fmamk_f16 v81, v50, 0xb964, v44
	v_fma_f16 v5, v52, 0x39e9, -v5
	v_fmac_f16_e32 v44, 0x3964, v50
	v_fmamk_f16 v82, v52, 0xb8d2, v45
	v_mul_f16_sdwa v78, v52, v78 dst_sel:DWORD dst_unused:UNUSED_PAD src0_sel:WORD_1 src1_sel:DWORD
	v_mul_f16_sdwa v6, v50, v6 dst_sel:DWORD dst_unused:UNUSED_PAD src0_sel:WORD_1 src1_sel:DWORD
	v_add_f16_e32 v97, v97, v101
	v_add_f16_e32 v100, v100, v102
	;; [unrolled: 1-line block ×3, first 2 shown]
	v_fma_f16 v13, v64, 0x3b76, -v13
	v_add_f16_e32 v46, v80, v46
	v_add_f16_e32 v79, v79, v92
	v_fmamk_f16 v80, v64, 0x39e9, v90
	v_fmamk_f16 v92, v51, 0xb964, v91
	v_fma_f16 v90, v64, 0x39e9, -v90
	v_add_f16_e32 v5, v5, v48
	v_add_f16_e32 v44, v44, v83
	;; [unrolled: 1-line block ×3, first 2 shown]
	v_fmamk_f16 v82, v50, 0x3a62, v78
	v_fmac_f16_e32 v78, 0xba62, v50
	v_fmamk_f16 v83, v52, 0x3722, v6
	v_fma_f16 v6, v52, 0x3722, -v6
	v_mul_f16_sdwa v15, v50, v15 dst_sel:DWORD dst_unused:UNUSED_PAD src0_sel:WORD_1 src1_sel:DWORD
	v_mul_f16_sdwa v4, v52, v4 dst_sel:DWORD dst_unused:UNUSED_PAD src0_sel:WORD_1 src1_sel:DWORD
	v_add_f16_e32 v13, v13, v93
	v_add_f16_e32 v80, v80, v97
	;; [unrolled: 1-line block ×4, first 2 shown]
	v_fma_f16 v45, v52, 0xb8d2, -v45
	v_mul_f16_sdwa v43, v52, v43 dst_sel:DWORD dst_unused:UNUSED_PAD src0_sel:WORD_1 src1_sel:DWORD
	v_add_f16_e32 v12, v78, v12
	v_add_f16_e32 v6, v6, v46
	v_fmamk_f16 v46, v52, 0xb461, v15
	v_fmamk_f16 v78, v50, 0x3bb2, v4
	v_fma_f16 v15, v52, 0xb461, -v15
	v_pk_mul_f16 v77, 0xbbdd, v77 op_sel_hi:[0,1]
	v_add_f16_e32 v13, v45, v13
	v_add_f16_e32 v45, v83, v47
	v_fmamk_f16 v47, v50, 0xbb29, v43
	v_fmac_f16_e32 v43, 0x3b29, v50
	v_add_f16_e32 v46, v46, v80
	v_add_f16_e32 v78, v78, v92
	;; [unrolled: 1-line block ×3, first 2 shown]
	v_pk_fma_f16 v49, 0xb1e1, v75, v77 op_sel:[0,0,1] op_sel_hi:[0,1,0]
	v_pk_mul_f16 v76, 0x3b76, v76 op_sel_hi:[0,1]
	v_add_f16_e32 v43, v43, v79
	v_pack_b32_f16 v46, v46, v78
	v_pk_fma_f16 v75, 0xb1e1, v75, v77 op_sel:[0,0,1] op_sel_hi:[0,1,0] neg_lo:[0,1,0] neg_hi:[0,1,0]
	v_alignbit_b32 v78, s0, v49, 16
	v_pk_fma_f16 v79, 0x35c8, v74, v76 op_sel:[0,0,1] op_sel_hi:[0,1,0]
	v_alignbit_b32 v77, s0, v0, 16
	v_pk_mul_f16 v73, 0xbacd, v73 op_sel_hi:[0,1]
	v_pk_add_f16 v75, v0, v75 op_sel:[1,0] op_sel_hi:[0,1]
	v_pk_add_f16 v78, v0, v78
	v_alignbit_b32 v80, s0, v79, 16
	v_pk_fma_f16 v74, 0x35c8, v74, v76 op_sel:[0,0,1] op_sel_hi:[0,1,0] neg_lo:[0,1,0] neg_hi:[0,1,0]
	v_pk_fma_f16 v76, 0xb836, v71, v73 op_sel:[0,0,1] op_sel_hi:[0,1,0]
	v_pk_add_f16 v49, v77, v49
	v_pk_mul_f16 v72, 0x39e9, v72 op_sel_hi:[0,1]
	v_pk_add_f16 v77, v80, v78
	v_pk_add_f16 v74, v74, v75
	v_alignbit_b32 v75, s0, v76, 16
	v_pk_fma_f16 v71, 0xb836, v71, v73 op_sel:[0,0,1] op_sel_hi:[0,1,0] neg_lo:[0,1,0] neg_hi:[0,1,0]
	v_pk_fma_f16 v73, 0x3964, v67, v72 op_sel:[0,0,1] op_sel_hi:[0,1,0]
	v_pk_add_f16 v49, v79, v49
	v_pk_mul_f16 v69, 0xb8d2, v69 op_sel_hi:[0,1]
	v_pk_add_f16 v75, v75, v77
	v_pk_add_f16 v71, v71, v74
	v_alignbit_b32 v74, s0, v73, 16
	v_pk_fma_f16 v67, 0x3964, v67, v72 op_sel:[0,0,1] op_sel_hi:[0,1,0] neg_lo:[0,1,0] neg_hi:[0,1,0]
	v_pk_fma_f16 v72, 0xba62, v65, v69 op_sel:[0,0,1] op_sel_hi:[0,1,0]
	v_pk_add_f16 v49, v76, v49
	v_pk_mul_f16 v66, 0x3722, v66 op_sel_hi:[0,1]
	v_bfi_b32 v68, 0xffff, v70, v68
	v_pk_add_f16 v74, v74, v75
	v_pk_add_f16 v67, v67, v71
	v_alignbit_b32 v71, s0, v72, 16
	v_pk_fma_f16 v65, 0xba62, v65, v69 op_sel:[0,0,1] op_sel_hi:[0,1,0] neg_lo:[0,1,0] neg_hi:[0,1,0]
	v_pk_fma_f16 v69, 0x3b29, v63, v66 op_sel:[0,0,1] op_sel_hi:[0,1,0]
	v_pk_add_f16 v49, v73, v49
	v_pk_mul_f16 v64, 0xb461, v64 op_sel_hi:[0,1]
	v_pk_add_f16 v0, v0, v68
	v_bfi_b32 v11, 0xffff, v14, v11
	v_fmac_f16_e32 v104, 0xb1e1, v63
	v_fma_f16 v7, v52, 0xbacd, -v7
	v_pk_add_f16 v71, v71, v74
	v_pk_add_f16 v65, v65, v67
	v_alignbit_b32 v67, s0, v69, 16
	v_pk_fma_f16 v63, 0x3b29, v63, v66 op_sel:[0,0,1] op_sel_hi:[0,1,0] neg_lo:[0,1,0] neg_hi:[0,1,0]
	v_pk_fma_f16 v66, 0xbbb2, v51, v64 op_sel:[0,0,1] op_sel_hi:[0,1,0]
	v_pk_add_f16 v49, v72, v49
	v_pk_mul_f16 v52, 0x2de8, v52 op_sel_hi:[0,1]
	v_pk_add_f16 v0, v11, v0
	v_bfi_b32 v11, 0xffff, v62, v61
	v_pk_add_f16 v67, v67, v71
	v_pk_add_f16 v63, v63, v65
	v_alignbit_b32 v65, s0, v66, 16
	v_pk_add_f16 v14, v69, v49
	v_pk_fma_f16 v49, 0xbbb2, v51, v64 op_sel:[0,0,1] op_sel_hi:[0,1,0] neg_lo:[0,1,0] neg_hi:[0,1,0]
	v_pk_fma_f16 v64, 0x3bf7, v50, v52 op_sel:[0,0,1] op_sel_hi:[0,1,0]
	v_pk_add_f16 v0, v11, v0
	v_bfi_b32 v11, 0xffff, v60, v58
	v_add_f16_e32 v86, v86, v94
	v_add_f16_e32 v89, v89, v96
	v_fmac_f16_e32 v91, 0x3964, v51
	v_fmac_f16_e32 v4, 0xbbb2, v50
	v_pk_add_f16 v51, v65, v67
	v_pk_add_f16 v49, v49, v63
	v_pk_fma_f16 v50, 0x3bf7, v50, v52 op_sel:[0,0,1] op_sel_hi:[0,1,0] neg_lo:[0,1,0] neg_hi:[0,1,0]
	v_pk_add_f16 v14, v66, v14
	v_alignbit_b32 v52, s0, v64, 16
	v_pk_add_f16 v0, v11, v0
	v_bfi_b32 v11, 0xffff, v57, v56
	v_add_f16_e32 v98, v104, v103
	v_add_f16_e32 v59, v59, v87
	;; [unrolled: 1-line block ×5, first 2 shown]
	v_pk_add_f16 v49, v50, v49
	v_pk_add_f16 v14, v64, v14
	;; [unrolled: 1-line block ×4, first 2 shown]
	v_bfi_b32 v11, 0xffff, v55, v54
	v_add_f16_e32 v90, v91, v98
	v_pack_b32_f16 v48, v48, v82
	v_pack_b32_f16 v59, v59, v81
	;; [unrolled: 1-line block ×3, first 2 shown]
	v_alignbit_b32 v14, v14, v49, 16
	v_pack_b32_f16 v47, v50, v49
	v_pk_add_f16 v11, v11, v0
	v_lshlrev_b32_e32 v0, 4, v40
	v_add_f16_e32 v4, v4, v90
	v_add_f16_e32 v7, v7, v84
	ds_write2_b32 v2, v59, v48 offset0:4 offset1:5
	ds_write2_b32 v2, v45, v46 offset0:6 offset1:7
	;; [unrolled: 1-line block ×3, first 2 shown]
	v_bfi_b32 v14, 0xffff, v53, v17
	v_lshlrev_b64 v[0:1], 2, v[0:1]
	v_pack_b32_f16 v6, v6, v43
	v_pack_b32_f16 v4, v15, v4
	;; [unrolled: 1-line block ×6, first 2 shown]
	v_pk_add_f16 v7, v14, v11
	v_bfi_b32 v9, 0xffff, v16, v10
	ds_write2_b32 v2, v4, v6 offset0:10 offset1:11
	ds_write2_b32 v2, v12, v5 offset0:12 offset1:13
	;; [unrolled: 1-line block ×3, first 2 shown]
	v_add_co_u32 v4, vcc_lo, s24, v0
	v_add_co_ci_u32_e32 v5, vcc_lo, s25, v1, vcc_lo
	v_pk_add_f16 v3, v9, v7
	ds_write_b32 v2, v3 offset:64
	s_waitcnt lgkmcnt(0)
	s_barrier
	buffer_gl0_inv
	s_clause 0x3
	global_load_dwordx4 v[0:3], v[4:5], off
	global_load_dwordx4 v[6:9], v[4:5], off offset:16
	global_load_dwordx4 v[43:46], v[4:5], off offset:32
	;; [unrolled: 1-line block ×3, first 2 shown]
	ds_read2_b32 v[4:5], v38 offset0:51 offset1:68
	ds_read2_b32 v[11:12], v38 offset0:85 offset1:102
	;; [unrolled: 1-line block ×8, first 2 shown]
	ds_read_b32 v59, v41
	ds_read_u16 v10, v38 offset:206
	s_waitcnt lgkmcnt(9)
	v_lshrrev_b32_e32 v15, 16, v5
	s_waitcnt lgkmcnt(8)
	v_lshrrev_b32_e32 v60, 16, v11
	v_lshrrev_b32_e32 v61, 16, v12
	s_waitcnt lgkmcnt(7)
	v_lshrrev_b32_e32 v62, 16, v16
	s_waitcnt lgkmcnt(5)
	v_lshrrev_b32_e32 v41, 16, v13
	v_lshrrev_b32_e32 v42, 16, v14
	;; [unrolled: 1-line block ×5, first 2 shown]
	s_waitcnt lgkmcnt(4)
	v_lshrrev_b32_e32 v66, 16, v53
	v_lshrrev_b32_e32 v67, 16, v54
	s_waitcnt lgkmcnt(3)
	v_lshrrev_b32_e32 v68, 16, v55
	v_lshrrev_b32_e32 v70, 16, v56
	;; [unrolled: 3-line block ×3, first 2 shown]
	s_waitcnt vmcnt(3)
	v_mul_f16_sdwa v69, v0, v41 dst_sel:DWORD dst_unused:UNUSED_PAD src0_sel:WORD_1 src1_sel:DWORD
	v_mul_f16_sdwa v73, v1, v42 dst_sel:DWORD dst_unused:UNUSED_PAD src0_sel:WORD_1 src1_sel:DWORD
	;; [unrolled: 1-line block ×3, first 2 shown]
	s_waitcnt lgkmcnt(0)
	v_mul_f16_sdwa v75, v10, v2 dst_sel:DWORD dst_unused:UNUSED_PAD src0_sel:DWORD src1_sel:WORD_1
	v_mul_f16_sdwa v76, v2, v4 dst_sel:DWORD dst_unused:UNUSED_PAD src0_sel:WORD_1 src1_sel:DWORD
	v_fmac_f16_e32 v69, v0, v13
	v_mul_f16_sdwa v13, v0, v13 dst_sel:DWORD dst_unused:UNUSED_PAD src0_sel:WORD_1 src1_sel:DWORD
	v_fmac_f16_e32 v73, v1, v14
	v_fma_f16 v74, v1, v42, -v74
	v_fmac_f16_e32 v75, v2, v4
	v_fma_f16 v76, v10, v2, -v76
	v_mul_f16_sdwa v1, v5, v3 dst_sel:DWORD dst_unused:UNUSED_PAD src0_sel:DWORD src1_sel:WORD_1
	s_waitcnt vmcnt(2)
	v_mul_f16_sdwa v2, v11, v6 dst_sel:DWORD dst_unused:UNUSED_PAD src0_sel:DWORD src1_sel:WORD_1
	v_fma_f16 v0, v0, v41, -v13
	v_mul_f16_sdwa v41, v15, v3 dst_sel:DWORD dst_unused:UNUSED_PAD src0_sel:DWORD src1_sel:WORD_1
	v_mul_f16_sdwa v14, v60, v6 dst_sel:DWORD dst_unused:UNUSED_PAD src0_sel:DWORD src1_sel:WORD_1
	v_fma_f16 v42, v15, v3, -v1
	v_fma_f16 v15, v60, v6, -v2
	v_mul_f16_sdwa v1, v12, v7 dst_sel:DWORD dst_unused:UNUSED_PAD src0_sel:DWORD src1_sel:WORD_1
	v_add_f16_e32 v2, v69, v59
	v_fmac_f16_e32 v41, v5, v3
	v_fmac_f16_e32 v14, v11, v6
	v_add_f16_sdwa v3, v0, v59 dst_sel:DWORD dst_unused:UNUSED_PAD src0_sel:DWORD src1_sel:WORD_1
	v_fma_f16 v11, v61, v7, -v1
	v_add_f16_e32 v1, v2, v73
	v_mul_f16_sdwa v10, v61, v7 dst_sel:DWORD dst_unused:UNUSED_PAD src0_sel:DWORD src1_sel:WORD_1
	v_mul_f16_sdwa v6, v62, v8 dst_sel:DWORD dst_unused:UNUSED_PAD src0_sel:DWORD src1_sel:WORD_1
	v_add_f16_e32 v3, v3, v74
	v_mul_f16_sdwa v4, v16, v8 dst_sel:DWORD dst_unused:UNUSED_PAD src0_sel:DWORD src1_sel:WORD_1
	v_add_f16_e32 v1, v1, v75
	v_fmac_f16_e32 v10, v12, v7
	v_fmac_f16_e32 v6, v16, v8
	v_add_f16_e32 v5, v3, v76
	v_mul_f16_sdwa v2, v63, v9 dst_sel:DWORD dst_unused:UNUSED_PAD src0_sel:DWORD src1_sel:WORD_1
	v_add_f16_e32 v1, v1, v41
	v_fma_f16 v7, v62, v8, -v4
	v_mul_f16_sdwa v4, v17, v9 dst_sel:DWORD dst_unused:UNUSED_PAD src0_sel:DWORD src1_sel:WORD_1
	v_add_f16_e32 v5, v5, v42
	s_waitcnt vmcnt(1)
	v_mul_f16_sdwa v3, v64, v43 dst_sel:DWORD dst_unused:UNUSED_PAD src0_sel:DWORD src1_sel:WORD_1
	v_add_f16_e32 v1, v1, v14
	v_fmac_f16_e32 v2, v17, v9
	v_fma_f16 v4, v63, v9, -v4
	v_add_f16_e32 v12, v5, v15
	v_fmac_f16_e32 v3, v51, v43
	v_add_f16_e32 v1, v1, v10
	v_mul_f16_sdwa v9, v51, v43 dst_sel:DWORD dst_unused:UNUSED_PAD src0_sel:DWORD src1_sel:WORD_1
	v_mul_f16_sdwa v8, v65, v44 dst_sel:DWORD dst_unused:UNUSED_PAD src0_sel:DWORD src1_sel:WORD_1
	v_add_f16_e32 v16, v12, v11
	v_mul_f16_sdwa v13, v52, v44 dst_sel:DWORD dst_unused:UNUSED_PAD src0_sel:DWORD src1_sel:WORD_1
	v_add_f16_e32 v1, v1, v6
	v_fma_f16 v5, v64, v43, -v9
	v_fmac_f16_e32 v8, v52, v44
	v_add_f16_e32 v17, v16, v7
	v_fma_f16 v9, v65, v44, -v13
	v_add_f16_e32 v1, v1, v2
	v_mul_f16_sdwa v12, v66, v45 dst_sel:DWORD dst_unused:UNUSED_PAD src0_sel:DWORD src1_sel:WORD_1
	v_mul_f16_sdwa v13, v53, v45 dst_sel:DWORD dst_unused:UNUSED_PAD src0_sel:DWORD src1_sel:WORD_1
	v_add_f16_e32 v17, v17, v4
	v_mul_f16_sdwa v16, v67, v46 dst_sel:DWORD dst_unused:UNUSED_PAD src0_sel:DWORD src1_sel:WORD_1
	v_add_f16_e32 v1, v1, v3
	v_fmac_f16_e32 v12, v53, v45
	v_fma_f16 v13, v66, v45, -v13
	v_add_f16_e32 v45, v17, v5
	v_fmac_f16_e32 v16, v54, v46
	v_add_f16_e32 v1, v1, v8
	v_mul_f16_sdwa v44, v54, v46 dst_sel:DWORD dst_unused:UNUSED_PAD src0_sel:DWORD src1_sel:WORD_1
	s_waitcnt vmcnt(0)
	v_mul_f16_sdwa v43, v68, v47 dst_sel:DWORD dst_unused:UNUSED_PAD src0_sel:DWORD src1_sel:WORD_1
	v_mul_f16_sdwa v51, v55, v47 dst_sel:DWORD dst_unused:UNUSED_PAD src0_sel:DWORD src1_sel:WORD_1
	v_add_f16_e32 v45, v45, v9
	v_add_f16_e32 v1, v1, v12
	v_fma_f16 v17, v67, v46, -v44
	v_fmac_f16_e32 v43, v55, v47
	v_fma_f16 v44, v68, v47, -v51
	v_mul_f16_sdwa v46, v70, v48 dst_sel:DWORD dst_unused:UNUSED_PAD src0_sel:DWORD src1_sel:WORD_1
	v_mul_f16_sdwa v47, v56, v48 dst_sel:DWORD dst_unused:UNUSED_PAD src0_sel:DWORD src1_sel:WORD_1
	v_add_f16_e32 v45, v45, v13
	v_add_f16_e32 v1, v1, v16
	v_mul_f16_sdwa v51, v71, v49 dst_sel:DWORD dst_unused:UNUSED_PAD src0_sel:DWORD src1_sel:WORD_1
	v_fmac_f16_e32 v46, v56, v48
	v_fma_f16 v47, v70, v48, -v47
	v_add_f16_e32 v45, v45, v17
	v_mul_f16_sdwa v48, v58, v50 dst_sel:DWORD dst_unused:UNUSED_PAD src0_sel:DWORD src1_sel:WORD_1
	v_add_f16_e32 v1, v1, v43
	v_fmac_f16_e32 v51, v57, v49
	v_mul_f16_sdwa v52, v57, v49 dst_sel:DWORD dst_unused:UNUSED_PAD src0_sel:DWORD src1_sel:WORD_1
	v_add_f16_e32 v45, v45, v44
	v_mul_f16_sdwa v53, v72, v50 dst_sel:DWORD dst_unused:UNUSED_PAD src0_sel:DWORD src1_sel:WORD_1
	v_fma_f16 v48, v72, v50, -v48
	v_add_f16_e32 v1, v1, v46
	v_fma_f16 v49, v71, v49, -v52
	v_add_f16_e32 v45, v45, v47
	v_fmac_f16_e32 v53, v58, v50
	v_sub_f16_e32 v50, v0, v48
	v_add_f16_e32 v1, v1, v51
	v_add_f16_e32 v52, v0, v48
	;; [unrolled: 1-line block ×4, first 2 shown]
	v_mul_f16_e32 v54, 0xb5c8, v50
	v_sub_f16_e32 v55, v69, v53
	v_mul_f16_e32 v56, 0x3b76, v52
	v_add_f16_e32 v1, v1, v53
	v_mul_f16_e32 v53, 0xb964, v50
	v_mul_f16_e32 v58, 0x39e9, v52
	;; [unrolled: 1-line block ×13, first 2 shown]
	v_add_f16_e32 v0, v0, v48
	v_fmamk_f16 v48, v45, 0x3b76, v54
	v_fmamk_f16 v57, v55, 0x35c8, v56
	v_fma_f16 v54, v45, 0x3b76, -v54
	v_fmamk_f16 v60, v45, 0x39e9, v53
	v_fmamk_f16 v62, v55, 0x3964, v58
	v_fma_f16 v53, v45, 0x39e9, -v53
	;; [unrolled: 3-line block ×3, first 2 shown]
	v_fmamk_f16 v68, v45, 0x2de8, v65
	v_fma_f16 v65, v45, 0x2de8, -v65
	v_fmamk_f16 v71, v45, 0xb461, v67
	v_fma_f16 v67, v45, 0xb461, -v67
	;; [unrolled: 2-line block ×5, first 2 shown]
	v_fmamk_f16 v50, v55, 0x3bf7, v69
	v_fmac_f16_e32 v69, 0xbbf7, v55
	v_fmamk_f16 v82, v55, 0x3bb2, v80
	v_mul_f16_e32 v52, 0xbbdd, v52
	v_fmamk_f16 v84, v55, 0x3a62, v81
	v_fmamk_f16 v85, v55, 0x3836, v83
	v_fmac_f16_e32 v56, 0xb5c8, v55
	v_fmac_f16_e32 v58, 0xb964, v55
	;; [unrolled: 1-line block ×6, first 2 shown]
	v_fmamk_f16 v86, v55, 0x31e1, v52
	v_fmac_f16_e32 v52, 0xb1e1, v55
	v_add_f16_sdwa v55, v57, v59 dst_sel:DWORD dst_unused:UNUSED_PAD src0_sel:DWORD src1_sel:WORD_1
	v_add_f16_e32 v57, v60, v59
	v_add_f16_sdwa v60, v62, v59 dst_sel:DWORD dst_unused:UNUSED_PAD src0_sel:DWORD src1_sel:WORD_1
	v_add_f16_e32 v62, v64, v59
	;; [unrolled: 2-line block ×4, first 2 shown]
	v_add_f16_sdwa v71, v82, v59 dst_sel:DWORD dst_unused:UNUSED_PAD src0_sel:DWORD src1_sel:WORD_1
	v_add_f16_sdwa v82, v84, v59 dst_sel:DWORD dst_unused:UNUSED_PAD src0_sel:DWORD src1_sel:WORD_1
	;; [unrolled: 1-line block ×3, first 2 shown]
	v_sub_f16_e32 v85, v74, v49
	v_add_f16_e32 v49, v74, v49
	v_add_f16_e32 v74, v73, v51
	v_sub_f16_e32 v51, v73, v51
	v_add_f16_e32 v48, v48, v59
	v_mul_f16_e32 v87, 0xb964, v85
	v_mul_f16_e32 v73, 0x39e9, v49
	v_add_f16_e32 v54, v54, v59
	v_add_f16_sdwa v56, v56, v59 dst_sel:DWORD dst_unused:UNUSED_PAD src0_sel:DWORD src1_sel:WORD_1
	v_add_f16_e32 v53, v53, v59
	v_add_f16_sdwa v58, v58, v59 dst_sel:DWORD dst_unused:UNUSED_PAD src0_sel:DWORD src1_sel:WORD_1
	;; [unrolled: 2-line block ×3, first 2 shown]
	v_add_f16_sdwa v50, v50, v59 dst_sel:DWORD dst_unused:UNUSED_PAD src0_sel:DWORD src1_sel:WORD_1
	v_add_f16_e32 v65, v65, v59
	v_add_f16_e32 v67, v67, v59
	v_add_f16_sdwa v80, v80, v59 dst_sel:DWORD dst_unused:UNUSED_PAD src0_sel:DWORD src1_sel:WORD_1
	v_add_f16_e32 v77, v77, v59
	v_add_f16_e32 v70, v70, v59
	;; [unrolled: 3-line block ×3, first 2 shown]
	v_add_f16_sdwa v83, v83, v59 dst_sel:DWORD dst_unused:UNUSED_PAD src0_sel:DWORD src1_sel:WORD_1
	v_add_f16_e32 v79, v79, v59
	v_add_f16_sdwa v86, v86, v59 dst_sel:DWORD dst_unused:UNUSED_PAD src0_sel:DWORD src1_sel:WORD_1
	v_fmamk_f16 v88, v74, 0x39e9, v87
	v_add_f16_e32 v45, v45, v59
	v_add_f16_sdwa v52, v52, v59 dst_sel:DWORD dst_unused:UNUSED_PAD src0_sel:DWORD src1_sel:WORD_1
	v_fmamk_f16 v59, v51, 0x3964, v73
	v_mul_f16_e32 v89, 0xbbf7, v85
	v_fmac_f16_e32 v73, 0xb964, v51
	v_add_f16_e32 v48, v88, v48
	v_fma_f16 v87, v74, 0x39e9, -v87
	v_add_f16_e32 v55, v59, v55
	v_fmamk_f16 v59, v74, 0x2de8, v89
	v_mul_f16_e32 v88, 0x2de8, v49
	v_add_f16_e32 v56, v73, v56
	v_mul_f16_e32 v73, 0xba62, v85
	v_add_f16_e32 v54, v87, v54
	v_add_f16_e32 v57, v59, v57
	v_fmamk_f16 v59, v51, 0x3bf7, v88
	v_fma_f16 v87, v74, 0x2de8, -v89
	v_fmac_f16_e32 v88, 0xbbf7, v51
	v_fmamk_f16 v89, v74, 0xb8d2, v73
	v_mul_f16_e32 v90, 0xb8d2, v49
	v_add_f16_e32 v59, v59, v60
	v_add_f16_e32 v53, v87, v53
	;; [unrolled: 1-line block ×4, first 2 shown]
	v_fmamk_f16 v62, v51, 0x3a62, v90
	v_mul_f16_e32 v87, 0xb1e1, v85
	v_fma_f16 v73, v74, 0xb8d2, -v73
	v_mul_f16_e32 v88, 0xbbdd, v49
	v_mul_f16_e32 v89, 0x3836, v85
	v_add_f16_e32 v62, v62, v64
	v_fmamk_f16 v64, v74, 0xbbdd, v87
	v_add_f16_e32 v61, v73, v61
	v_fmamk_f16 v73, v51, 0x31e1, v88
	v_fmac_f16_e32 v90, 0xba62, v51
	v_fmac_f16_e32 v88, 0xb1e1, v51
	v_add_f16_e32 v64, v64, v66
	v_fma_f16 v66, v74, 0xbbdd, -v87
	v_add_f16_e32 v50, v73, v50
	v_fmamk_f16 v73, v74, 0xbacd, v89
	v_mul_f16_e32 v87, 0xbacd, v49
	v_add_f16_e32 v63, v90, v63
	v_add_f16_e32 v65, v66, v65
	;; [unrolled: 1-line block ×3, first 2 shown]
	v_mul_f16_e32 v68, 0x3bb2, v85
	v_add_f16_e32 v69, v73, v69
	v_fmamk_f16 v73, v51, 0xb836, v87
	v_fma_f16 v88, v74, 0xbacd, -v89
	v_fmac_f16_e32 v87, 0x3836, v51
	v_mul_f16_e32 v90, 0xb461, v49
	v_fmamk_f16 v89, v74, 0xb461, v68
	v_add_f16_e32 v71, v73, v71
	v_add_f16_e32 v67, v88, v67
	;; [unrolled: 1-line block ×3, first 2 shown]
	v_fmamk_f16 v80, v51, 0xbbb2, v90
	v_fma_f16 v68, v74, 0xb461, -v68
	v_mul_f16_e32 v87, 0x3b29, v85
	v_mul_f16_e32 v88, 0x3722, v49
	;; [unrolled: 1-line block ×3, first 2 shown]
	v_add_f16_e32 v80, v80, v82
	v_add_f16_e32 v68, v68, v70
	v_fmamk_f16 v70, v74, 0x3722, v87
	v_fmamk_f16 v82, v51, 0xbb29, v88
	v_fma_f16 v87, v74, 0x3722, -v87
	v_mul_f16_e32 v49, 0x3b76, v49
	v_fmac_f16_e32 v88, 0x3b29, v51
	v_add_f16_e32 v70, v70, v78
	v_add_f16_e32 v78, v82, v84
	v_fmamk_f16 v82, v74, 0x3b76, v85
	v_fma_f16 v74, v74, 0x3b76, -v85
	v_sub_f16_e32 v85, v76, v47
	v_add_f16_e32 v47, v76, v47
	v_fmac_f16_e32 v90, 0x3bb2, v51
	v_fmamk_f16 v84, v51, 0xb5c8, v49
	v_fmac_f16_e32 v49, 0x35c8, v51
	v_add_f16_e32 v51, v88, v83
	v_add_f16_e32 v76, v75, v46
	v_mul_f16_e32 v83, 0xbb29, v85
	v_sub_f16_e32 v46, v75, v46
	v_mul_f16_e32 v75, 0x3722, v47
	v_add_f16_e32 v79, v82, v79
	v_add_f16_e32 v82, v84, v86
	v_fmamk_f16 v84, v76, 0x3722, v83
	v_add_f16_e32 v45, v74, v45
	v_add_f16_e32 v49, v49, v52
	v_mul_f16_e32 v52, 0xba62, v85
	v_fmamk_f16 v74, v46, 0x3b29, v75
	v_add_f16_e32 v48, v84, v48
	v_fma_f16 v83, v76, 0x3722, -v83
	v_fmac_f16_e32 v75, 0xbb29, v46
	v_fmamk_f16 v84, v76, 0xb8d2, v52
	v_add_f16_e32 v55, v74, v55
	v_mul_f16_e32 v74, 0xb8d2, v47
	v_add_f16_e32 v54, v83, v54
	v_add_f16_e32 v56, v75, v56
	;; [unrolled: 1-line block ×3, first 2 shown]
	v_mul_f16_e32 v75, 0x31e1, v85
	v_fmamk_f16 v83, v46, 0x3a62, v74
	v_fma_f16 v52, v76, 0xb8d2, -v52
	v_fmac_f16_e32 v74, 0xba62, v46
	v_mul_f16_e32 v84, 0xbbdd, v47
	v_fmamk_f16 v86, v76, 0xbbdd, v75
	v_fma_f16 v75, v76, 0xbbdd, -v75
	v_add_f16_e32 v52, v52, v53
	v_add_f16_e32 v53, v74, v58
	v_fmamk_f16 v58, v46, 0xb1e1, v84
	v_mul_f16_e32 v74, 0x3bb2, v85
	v_add_f16_e32 v59, v83, v59
	v_fmac_f16_e32 v84, 0x31e1, v46
	v_add_f16_e32 v61, v75, v61
	v_add_f16_e32 v58, v58, v62
	v_mul_f16_e32 v62, 0xb461, v47
	v_fmamk_f16 v83, v76, 0xb461, v74
	v_mul_f16_e32 v75, 0x3964, v85
	v_add_f16_e32 v63, v84, v63
	v_fma_f16 v74, v76, 0xb461, -v74
	v_fmamk_f16 v84, v46, 0xbbb2, v62
	v_add_f16_e32 v64, v83, v64
	v_fmac_f16_e32 v62, 0x3bb2, v46
	v_fmamk_f16 v83, v76, 0x39e9, v75
	v_add_f16_e32 v77, v89, v77
	v_add_f16_e32 v50, v84, v50
	v_mul_f16_e32 v84, 0x39e9, v47
	v_add_f16_e32 v62, v62, v66
	v_add_f16_e32 v66, v83, v69
	v_mul_f16_e32 v69, 0xb5c8, v85
	v_add_f16_e32 v60, v86, v60
	v_add_f16_e32 v65, v74, v65
	v_fmamk_f16 v74, v46, 0xb964, v84
	v_fma_f16 v75, v76, 0x39e9, -v75
	v_mul_f16_e32 v83, 0x3b76, v47
	v_fmamk_f16 v86, v76, 0x3b76, v69
	v_add_f16_e32 v81, v90, v81
	v_add_f16_e32 v71, v74, v71
	;; [unrolled: 1-line block ×3, first 2 shown]
	v_fmamk_f16 v74, v46, 0x35c8, v83
	v_add_f16_e32 v75, v86, v77
	v_fma_f16 v69, v76, 0x3b76, -v69
	v_fmac_f16_e32 v83, 0xb5c8, v46
	v_mul_f16_e32 v77, 0xbbf7, v85
	v_add_f16_e32 v72, v87, v72
	v_fmac_f16_e32 v84, 0x3964, v46
	v_add_f16_e32 v74, v74, v80
	v_mul_f16_e32 v80, 0x2de8, v47
	v_add_f16_e32 v68, v69, v68
	v_add_f16_e32 v69, v83, v81
	v_fmamk_f16 v81, v76, 0x2de8, v77
	v_mul_f16_e32 v83, 0xb836, v85
	v_fma_f16 v77, v76, 0x2de8, -v77
	v_add_f16_e32 v73, v84, v73
	v_fmamk_f16 v84, v46, 0x3bf7, v80
	v_fmac_f16_e32 v80, 0xbbf7, v46
	v_add_f16_e32 v70, v81, v70
	v_fmamk_f16 v81, v76, 0xbacd, v83
	v_add_f16_e32 v72, v77, v72
	v_sub_f16_e32 v77, v42, v44
	v_add_f16_e32 v51, v80, v51
	v_mul_f16_e32 v47, 0xbacd, v47
	v_add_f16_e32 v79, v81, v79
	v_add_f16_e32 v80, v41, v43
	v_mul_f16_e32 v81, 0xbbf7, v77
	v_add_f16_e32 v42, v42, v44
	v_fma_f16 v76, v76, 0xbacd, -v83
	v_fmamk_f16 v44, v46, 0x3836, v47
	v_fmac_f16_e32 v47, 0xb836, v46
	v_sub_f16_e32 v41, v41, v43
	v_fmamk_f16 v43, v80, 0x2de8, v81
	v_mul_f16_e32 v46, 0x2de8, v42
	v_add_f16_e32 v45, v76, v45
	v_add_f16_e32 v47, v47, v49
	v_mul_f16_e32 v49, 0xb1e1, v77
	v_add_f16_e32 v43, v43, v48
	v_fmamk_f16 v48, v41, 0x3bf7, v46
	v_fma_f16 v76, v80, 0x2de8, -v81
	v_fmac_f16_e32 v46, 0xbbf7, v41
	v_mul_f16_e32 v81, 0xbbdd, v42
	v_add_f16_e32 v44, v44, v82
	v_add_f16_e32 v48, v48, v55
	v_fmamk_f16 v55, v80, 0xbbdd, v49
	v_add_f16_e32 v54, v76, v54
	v_add_f16_e32 v46, v46, v56
	v_fmamk_f16 v56, v41, 0x31e1, v81
	v_mul_f16_e32 v76, 0x3bb2, v77
	v_fma_f16 v49, v80, 0xbbdd, -v49
	v_fmac_f16_e32 v81, 0xb1e1, v41
	v_add_f16_e32 v55, v55, v57
	v_add_f16_e32 v56, v56, v59
	v_fmamk_f16 v57, v80, 0xb461, v76
	v_mul_f16_e32 v59, 0xb461, v42
	v_add_f16_e32 v49, v49, v52
	v_add_f16_e32 v52, v81, v53
	v_mul_f16_e32 v53, 0x35c8, v77
	v_add_f16_e32 v57, v57, v60
	v_fmamk_f16 v60, v41, 0xbbb2, v59
	v_fma_f16 v76, v80, 0xb461, -v76
	v_fmac_f16_e32 v59, 0x3bb2, v41
	v_fmamk_f16 v81, v80, 0x3b76, v53
	v_mul_f16_e32 v82, 0x3b76, v42
	v_add_f16_e32 v58, v60, v58
	v_add_f16_e32 v60, v76, v61
	;; [unrolled: 1-line block ×4, first 2 shown]
	v_fmamk_f16 v63, v41, 0xb5c8, v82
	v_mul_f16_e32 v64, 0xbb29, v77
	v_fma_f16 v53, v80, 0x3b76, -v53
	v_mul_f16_e32 v76, 0x3722, v42
	v_mul_f16_e32 v81, 0xb836, v77
	v_add_f16_e32 v50, v63, v50
	v_fmamk_f16 v63, v80, 0x3722, v64
	v_add_f16_e32 v53, v53, v65
	v_fmamk_f16 v65, v41, 0x3b29, v76
	v_fma_f16 v64, v80, 0x3722, -v64
	v_fmac_f16_e32 v76, 0xbb29, v41
	v_fmac_f16_e32 v82, 0x35c8, v41
	v_add_f16_e32 v63, v63, v66
	v_add_f16_e32 v65, v65, v71
	v_fmamk_f16 v66, v80, 0xbacd, v81
	v_mul_f16_e32 v71, 0xbacd, v42
	v_add_f16_e32 v64, v64, v67
	v_add_f16_e32 v67, v76, v73
	v_mul_f16_e32 v73, 0x3a62, v77
	v_add_f16_e32 v62, v82, v62
	v_add_f16_e32 v66, v66, v75
	v_fmamk_f16 v75, v41, 0x3836, v71
	v_fma_f16 v76, v80, 0xbacd, -v81
	v_fmamk_f16 v81, v80, 0xb8d2, v73
	v_mul_f16_e32 v82, 0xb8d2, v42
	v_mul_f16_e32 v42, 0x39e9, v42
	v_fma_f16 v73, v80, 0xb8d2, -v73
	v_add_f16_e32 v74, v75, v74
	v_mul_f16_e32 v75, 0x3964, v77
	v_fmac_f16_e32 v71, 0xb836, v41
	v_fmamk_f16 v77, v41, 0xb964, v42
	v_add_f16_e32 v72, v73, v72
	v_sub_f16_e32 v73, v15, v17
	v_add_f16_e32 v15, v15, v17
	v_add_f16_e32 v68, v76, v68
	v_fmamk_f16 v76, v80, 0x39e9, v75
	v_add_f16_e32 v44, v77, v44
	v_add_f16_e32 v77, v14, v16
	v_mul_f16_e32 v17, 0xbbb2, v73
	v_fma_f16 v75, v80, 0x39e9, -v75
	v_fmac_f16_e32 v42, 0x3964, v41
	v_sub_f16_e32 v14, v14, v16
	v_mul_f16_e32 v16, 0xb461, v15
	v_add_f16_e32 v69, v71, v69
	v_fmamk_f16 v71, v41, 0xba62, v82
	v_fmac_f16_e32 v82, 0x3a62, v41
	v_fmamk_f16 v41, v77, 0xb461, v17
	v_add_f16_e32 v45, v75, v45
	v_add_f16_e32 v42, v42, v47
	v_mul_f16_e32 v47, 0x3836, v73
	v_fmamk_f16 v75, v14, 0x3bb2, v16
	v_add_f16_e32 v41, v41, v43
	v_fma_f16 v17, v77, 0xb461, -v17
	v_fmac_f16_e32 v16, 0xbbb2, v14
	v_fmamk_f16 v43, v77, 0xbacd, v47
	v_add_f16_e32 v48, v75, v48
	v_mul_f16_e32 v75, 0xbacd, v15
	v_add_f16_e32 v78, v84, v78
	v_add_f16_e32 v17, v17, v54
	;; [unrolled: 1-line block ×4, first 2 shown]
	v_mul_f16_e32 v46, 0x3964, v73
	v_fmamk_f16 v54, v14, 0xb836, v75
	v_fma_f16 v47, v77, 0xbacd, -v47
	v_fmac_f16_e32 v75, 0x3836, v14
	v_mul_f16_e32 v55, 0x39e9, v15
	v_add_f16_e32 v71, v71, v78
	v_fmamk_f16 v78, v77, 0x39e9, v46
	v_add_f16_e32 v47, v47, v49
	v_add_f16_e32 v49, v75, v52
	v_fmamk_f16 v52, v14, 0xb964, v55
	v_add_f16_e32 v54, v54, v56
	v_add_f16_e32 v56, v78, v57
	v_mul_f16_e32 v57, 0xbb29, v73
	v_fma_f16 v46, v77, 0x39e9, -v46
	v_fmac_f16_e32 v55, 0x3964, v14
	v_add_f16_e32 v52, v52, v58
	v_mul_f16_e32 v58, 0x3722, v15
	v_fmamk_f16 v75, v77, 0x3722, v57
	v_add_f16_e32 v46, v46, v60
	v_add_f16_e32 v55, v55, v59
	v_mul_f16_e32 v59, 0xb1e1, v73
	v_fmamk_f16 v60, v14, 0x3b29, v58
	v_fma_f16 v57, v77, 0x3722, -v57
	v_fmac_f16_e32 v58, 0xbb29, v14
	v_add_f16_e32 v61, v75, v61
	v_fmamk_f16 v75, v77, 0xbbdd, v59
	v_add_f16_e32 v50, v60, v50
	v_mul_f16_e32 v60, 0xbbdd, v15
	v_add_f16_e32 v53, v57, v53
	v_add_f16_e32 v57, v58, v62
	v_mul_f16_e32 v62, 0x3bf7, v73
	v_add_f16_e32 v58, v75, v63
	v_fmamk_f16 v63, v14, 0x31e1, v60
	v_fma_f16 v59, v77, 0xbbdd, -v59
	v_mul_f16_e32 v75, 0x2de8, v15
	v_fmamk_f16 v78, v77, 0x2de8, v62
	v_fmac_f16_e32 v60, 0xb1e1, v14
	v_add_f16_e32 v63, v63, v65
	v_add_f16_e32 v59, v59, v64
	v_fmamk_f16 v64, v14, 0xbbf7, v75
	v_add_f16_e32 v65, v78, v66
	v_mul_f16_e32 v66, 0xb5c8, v73
	v_fma_f16 v62, v77, 0x2de8, -v62
	v_fmac_f16_e32 v75, 0x3bf7, v14
	v_add_f16_e32 v70, v81, v70
	v_add_f16_e32 v60, v60, v67
	v_add_f16_e32 v64, v64, v74
	v_mul_f16_e32 v67, 0x3b76, v15
	v_fmamk_f16 v74, v77, 0x3b76, v66
	v_add_f16_e32 v62, v62, v68
	v_add_f16_e32 v68, v75, v69
	v_mul_f16_e32 v69, 0xba62, v73
	v_fma_f16 v66, v77, 0x3b76, -v66
	v_add_f16_e32 v51, v82, v51
	v_add_f16_e32 v76, v76, v79
	v_fmamk_f16 v73, v14, 0x35c8, v67
	v_add_f16_e32 v70, v74, v70
	v_fmac_f16_e32 v67, 0xb5c8, v14
	v_fmamk_f16 v74, v77, 0xb8d2, v69
	v_mul_f16_e32 v15, 0xb8d2, v15
	v_add_f16_e32 v66, v66, v72
	v_sub_f16_e32 v72, v11, v13
	v_add_f16_e32 v11, v11, v13
	v_add_f16_e32 v71, v73, v71
	;; [unrolled: 1-line block ×4, first 2 shown]
	v_fmamk_f16 v73, v14, 0x3a62, v15
	v_fma_f16 v69, v77, 0xb8d2, -v69
	v_add_f16_e32 v13, v10, v12
	v_mul_f16_e32 v74, 0xba62, v72
	v_fmac_f16_e32 v15, 0xba62, v14
	v_sub_f16_e32 v10, v10, v12
	v_mul_f16_e32 v12, 0xb8d2, v11
	v_add_f16_e32 v14, v73, v44
	v_fmamk_f16 v44, v13, 0xb8d2, v74
	v_add_f16_e32 v45, v69, v45
	v_add_f16_e32 v15, v15, v42
	v_fmamk_f16 v42, v10, 0x3a62, v12
	v_mul_f16_e32 v69, 0x3bb2, v72
	v_fmac_f16_e32 v12, 0xba62, v10
	v_add_f16_e32 v41, v44, v41
	v_fma_f16 v44, v13, 0xb8d2, -v74
	v_add_f16_e32 v42, v42, v48
	v_fmamk_f16 v48, v13, 0xb461, v69
	v_mul_f16_e32 v73, 0xb461, v11
	v_add_f16_e32 v12, v12, v16
	v_mul_f16_e32 v16, 0xb5c8, v72
	v_add_f16_e32 v17, v44, v17
	v_add_f16_e32 v43, v48, v43
	v_fmamk_f16 v44, v10, 0xbbb2, v73
	v_fma_f16 v48, v13, 0xb461, -v69
	v_fmac_f16_e32 v73, 0x3bb2, v10
	v_fmamk_f16 v69, v13, 0x3b76, v16
	v_mul_f16_e32 v74, 0x3b76, v11
	v_add_f16_e32 v44, v44, v54
	v_add_f16_e32 v47, v48, v47
	;; [unrolled: 1-line block ×4, first 2 shown]
	v_fmamk_f16 v54, v10, 0x35c8, v74
	v_mul_f16_e32 v56, 0xb836, v72
	v_fma_f16 v16, v13, 0x3b76, -v16
	v_fmac_f16_e32 v74, 0xb5c8, v10
	v_mul_f16_e32 v69, 0xbacd, v11
	v_add_f16_e32 v52, v54, v52
	v_fmamk_f16 v54, v13, 0xbacd, v56
	v_add_f16_e32 v16, v16, v46
	v_add_f16_e32 v46, v74, v55
	v_fmamk_f16 v55, v10, 0x3836, v69
	v_mul_f16_e32 v73, 0x3bf7, v72
	v_fma_f16 v56, v13, 0xbacd, -v56
	v_fmac_f16_e32 v69, 0xb836, v10
	v_add_f16_e32 v54, v54, v61
	v_add_f16_e32 v50, v55, v50
	v_fmamk_f16 v55, v13, 0x2de8, v73
	v_mul_f16_e32 v61, 0x2de8, v11
	v_add_f16_e32 v53, v56, v53
	v_add_f16_e32 v56, v69, v57
	v_mul_f16_e32 v57, 0xb964, v72
	v_add_f16_e32 v55, v55, v58
	v_fmamk_f16 v58, v10, 0xbbf7, v61
	v_fma_f16 v69, v13, 0x2de8, -v73
	v_fmac_f16_e32 v61, 0x3bf7, v10
	v_fmamk_f16 v73, v13, 0x39e9, v57
	v_mul_f16_e32 v74, 0x39e9, v11
	v_add_f16_e32 v58, v58, v63
	v_add_f16_e32 v59, v69, v59
	v_add_f16_e32 v60, v61, v60
	v_add_f16_e32 v61, v73, v65
	v_fmamk_f16 v63, v10, 0x3964, v74
	v_mul_f16_e32 v65, 0xb1e1, v72
	v_fma_f16 v57, v13, 0x39e9, -v57
	v_fmac_f16_e32 v74, 0xb964, v10
	v_mul_f16_e32 v69, 0xbbdd, v11
	v_add_f16_e32 v63, v63, v64
	v_fmamk_f16 v64, v13, 0xbbdd, v65
	v_mul_f16_e32 v72, 0x3b29, v72
	v_fma_f16 v65, v13, 0xbbdd, -v65
	v_add_f16_e32 v57, v57, v62
	v_add_f16_e32 v62, v74, v68
	v_fmamk_f16 v68, v10, 0x31e1, v69
	v_add_f16_e32 v64, v64, v70
	v_fmac_f16_e32 v69, 0xb1e1, v10
	v_fmamk_f16 v70, v13, 0x3722, v72
	v_mul_f16_e32 v11, 0x3722, v11
	v_add_f16_e32 v65, v65, v66
	v_sub_f16_e32 v66, v7, v9
	v_add_f16_e32 v7, v7, v9
	v_add_f16_e32 v51, v69, v51
	;; [unrolled: 1-line block ×3, first 2 shown]
	v_fmamk_f16 v69, v10, 0xbb29, v11
	v_add_f16_e32 v70, v6, v8
	v_mul_f16_e32 v9, 0xb836, v66
	v_fmac_f16_e32 v11, 0x3b29, v10
	v_sub_f16_e32 v6, v6, v8
	v_mul_f16_e32 v8, 0xbacd, v7
	v_fma_f16 v13, v13, 0x3722, -v72
	v_fmamk_f16 v10, v70, 0xbacd, v9
	v_add_f16_e32 v11, v11, v15
	v_fma_f16 v9, v70, 0xbacd, -v9
	v_fmamk_f16 v15, v6, 0x3836, v8
	v_fmac_f16_e32 v8, 0xb836, v6
	v_add_f16_e32 v10, v10, v41
	v_mul_f16_e32 v41, 0x3b29, v66
	v_add_f16_e32 v13, v13, v45
	v_add_f16_e32 v15, v15, v42
	v_mul_f16_e32 v42, 0x3722, v7
	v_add_f16_e32 v9, v9, v17
	v_fmamk_f16 v45, v70, 0x3722, v41
	v_add_f16_e32 v8, v8, v12
	v_mul_f16_e32 v12, 0xbbf7, v66
	v_fmamk_f16 v17, v6, 0xbb29, v42
	v_fmac_f16_e32 v42, 0x3b29, v6
	v_add_f16_e32 v43, v45, v43
	v_fma_f16 v41, v70, 0x3722, -v41
	v_fmamk_f16 v45, v70, 0x2de8, v12
	v_add_f16_e32 v17, v17, v44
	v_mul_f16_e32 v44, 0x2de8, v7
	v_add_f16_e32 v42, v42, v48
	v_fma_f16 v12, v70, 0x2de8, -v12
	v_add_f16_e32 v45, v45, v49
	v_mul_f16_e32 v49, 0xb8d2, v7
	v_fmamk_f16 v48, v6, 0x3bf7, v44
	v_fmac_f16_e32 v44, 0xbbf7, v6
	v_add_f16_e32 v12, v12, v16
	v_add_f16_e32 v41, v41, v47
	v_mul_f16_e32 v47, 0x3a62, v66
	v_add_f16_e32 v14, v69, v14
	v_add_f16_e32 v16, v44, v46
	v_fmamk_f16 v44, v6, 0xba62, v49
	v_fmac_f16_e32 v49, 0x3a62, v6
	v_fmamk_f16 v69, v70, 0xb8d2, v47
	v_add_f16_e32 v48, v48, v52
	v_mul_f16_e32 v52, 0xb5c8, v66
	v_add_f16_e32 v44, v44, v50
	v_mul_f16_e32 v50, 0x3b76, v7
	v_fma_f16 v47, v70, 0xb8d2, -v47
	v_add_f16_e32 v49, v49, v56
	v_add_f16_e32 v46, v69, v54
	v_fmamk_f16 v54, v70, 0x3b76, v52
	v_fmamk_f16 v56, v6, 0x35c8, v50
	v_add_f16_e32 v47, v47, v53
	v_mul_f16_e32 v53, 0xb1e1, v66
	v_fma_f16 v52, v70, 0x3b76, -v52
	v_fmac_f16_e32 v50, 0xb5c8, v6
	v_add_f16_e32 v56, v56, v58
	v_mul_f16_e32 v58, 0xbbdd, v7
	v_add_f16_e32 v54, v54, v55
	v_fmamk_f16 v55, v70, 0xbbdd, v53
	v_add_f16_e32 v52, v52, v59
	v_add_f16_e32 v50, v50, v60
	v_mul_f16_e32 v59, 0x3964, v66
	v_fmamk_f16 v60, v6, 0x31e1, v58
	v_add_f16_e32 v55, v55, v61
	v_fma_f16 v53, v70, 0xbbdd, -v53
	v_fmac_f16_e32 v58, 0xb1e1, v6
	v_mul_f16_e32 v61, 0x39e9, v7
	v_fmamk_f16 v69, v70, 0x39e9, v59
	v_add_f16_e32 v60, v60, v63
	v_mul_f16_e32 v63, 0xbbb2, v66
	v_mul_f16_e32 v7, 0xb461, v7
	v_fma_f16 v59, v70, 0x39e9, -v59
	v_add_f16_e32 v53, v53, v57
	v_add_f16_e32 v57, v58, v62
	v_fmamk_f16 v58, v6, 0xb964, v61
	v_add_f16_e32 v62, v69, v64
	v_fmac_f16_e32 v61, 0x3964, v6
	v_fmamk_f16 v64, v70, 0xb461, v63
	v_fmamk_f16 v66, v6, 0x3bb2, v7
	v_add_f16_e32 v59, v59, v65
	v_sub_f16_e32 v65, v4, v5
	v_add_f16_e32 v68, v68, v71
	v_add_f16_e32 v51, v61, v51
	;; [unrolled: 1-line block ×5, first 2 shown]
	v_mul_f16_e32 v14, 0xb1e1, v65
	v_add_f16_e32 v67, v4, v5
	v_fma_f16 v4, v70, 0xb461, -v63
	v_add_f16_e32 v58, v58, v68
	v_fmac_f16_e32 v7, 0xbbb2, v6
	v_sub_f16_e32 v63, v2, v3
	v_fmamk_f16 v2, v66, 0xbbdd, v14
	v_mul_f16_e32 v3, 0xbbdd, v67
	v_add_f16_e32 v68, v4, v13
	v_mul_f16_e32 v4, 0x35c8, v65
	v_add_f16_e32 v69, v7, v11
	v_add_f16_e32 v70, v2, v10
	v_fmamk_f16 v2, v63, 0x31e1, v3
	v_fma_f16 v5, v66, 0xbbdd, -v14
	v_fmac_f16_e32 v3, 0xb1e1, v63
	v_fmamk_f16 v6, v66, 0x3b76, v4
	v_mul_f16_e32 v7, 0x3b76, v67
	v_add_f16_e32 v15, v2, v15
	v_add_f16_e32 v2, v5, v9
	v_add_f16_e32 v3, v3, v8
	v_add_f16_e32 v71, v6, v43
	v_fmamk_f16 v5, v63, 0xb5c8, v7
	v_mul_f16_e32 v6, 0xb836, v65
	v_fmac_f16_e32 v7, 0x35c8, v63
	v_mul_f16_e32 v8, 0xbacd, v67
	v_mul_f16_e32 v10, 0x3964, v65
	v_add_f16_e32 v72, v5, v17
	v_fmamk_f16 v9, v66, 0xbacd, v6
	v_add_f16_e32 v5, v7, v42
	v_fmamk_f16 v7, v63, 0x3836, v8
	v_fma_f16 v6, v66, 0xbacd, -v6
	v_fmac_f16_e32 v8, 0xb836, v63
	v_add_f16_e32 v73, v9, v45
	v_fmamk_f16 v9, v66, 0x39e9, v10
	v_add_f16_e32 v48, v7, v48
	v_add_f16_e32 v7, v6, v12
	v_mul_f16_e32 v12, 0xba62, v65
	v_mul_f16_e32 v11, 0x39e9, v67
	v_add_f16_e32 v46, v9, v46
	v_fma_f16 v9, v66, 0x39e9, -v10
	v_mul_f16_e32 v13, 0xb8d2, v67
	v_fmamk_f16 v10, v66, 0xb8d2, v12
	v_mul_lo_u32 v17, v40, v39
	v_add_f16_e32 v6, v8, v16
	v_fmamk_f16 v8, v63, 0xb964, v11
	v_fmac_f16_e32 v11, 0x3964, v63
	v_add_f16_e32 v9, v9, v47
	v_add_f16_e32 v47, v10, v54
	v_fmamk_f16 v10, v63, 0x3a62, v13
	v_fmac_f16_e32 v13, 0xba62, v63
	v_mul_f16_e32 v16, 0x3722, v67
	v_add_f16_e32 v74, v8, v44
	v_add_f16_e32 v8, v11, v49
	v_fma_f16 v11, v66, 0xb8d2, -v12
	v_add_f16_e32 v49, v10, v56
	v_add_f16_e32 v10, v13, v50
	v_fmamk_f16 v13, v63, 0xbb29, v16
	v_lshrrev_b32_e32 v42, 3, v17
	v_and_b32_e32 v44, 31, v17
	v_mul_f16_e32 v12, 0x3b29, v65
	v_add_f16_e32 v11, v11, v52
	v_add_f16_e32 v52, v13, v60
	v_lshl_add_u32 v13, v39, 4, v39
	v_and_b32_e32 v42, 0x7c, v42
	v_lshl_add_u32 v44, v44, 2, 0
	v_fmamk_f16 v14, v66, 0x3722, v12
	v_fma_f16 v12, v66, 0x3722, -v12
	v_lshrrev_b32_e32 v43, 8, v17
	v_add_nc_u32_e32 v17, v17, v13
	v_add_nc_u32_e32 v42, s10, v42
	ds_read_b32 v44, v44 offset:8092
	v_add_f16_e32 v50, v14, v55
	v_add_f16_e32 v14, v12, v53
	v_add_nc_u32_e32 v53, v17, v13
	ds_read_b32 v42, v42 offset:128
	v_lshrrev_b32_e32 v45, 3, v17
	v_lshrrev_b32_e32 v54, 8, v17
	v_and_b32_e32 v43, 0x7c, v43
	v_lshrrev_b32_e32 v55, 3, v53
	v_and_b32_e32 v17, 31, v17
	v_and_b32_e32 v45, 0x7c, v45
	;; [unrolled: 1-line block ×5, first 2 shown]
	v_add_nc_u32_e32 v43, s10, v43
	v_mul_f16_e32 v12, 0xb461, v67
	v_lshl_add_u32 v17, v17, 2, 0
	v_add_nc_u32_e32 v45, s10, v45
	v_add_nc_u32_e32 v54, s10, v54
	v_lshl_add_u32 v56, v56, 2, 0
	v_add_nc_u32_e32 v55, s10, v55
	ds_read_b32 v43, v43 offset:256
	ds_read_b32 v17, v17 offset:8092
	;; [unrolled: 1-line block ×6, first 2 shown]
	v_fma_f16 v4, v66, 0x3b76, -v4
	v_mul_f16_e32 v40, 0xbbb2, v65
	v_fmac_f16_e32 v16, 0x3b29, v63
	v_fmamk_f16 v39, v63, 0x3bb2, v12
	s_waitcnt lgkmcnt(7)
	v_lshrrev_b32_e32 v45, 16, v44
	v_add_f16_e32 v4, v4, v41
	v_fmamk_f16 v41, v66, 0xb461, v40
	v_fma_f16 v75, v66, 0xb461, -v40
	v_add_f16_e32 v40, v16, v57
	v_add_f16_e32 v58, v39, v58
	s_waitcnt lgkmcnt(6)
	v_mul_f16_sdwa v16, v45, v42 dst_sel:DWORD dst_unused:UNUSED_PAD src0_sel:DWORD src1_sel:WORD_1
	v_mul_f16_e32 v39, 0x3bf7, v65
	v_add_f16_e32 v57, v41, v62
	v_mul_f16_sdwa v62, v44, v42 dst_sel:DWORD dst_unused:UNUSED_PAD src0_sel:DWORD src1_sel:WORD_1
	v_fmac_f16_e32 v12, 0xbbb2, v63
	v_fma_f16 v16, v44, v42, -v16
	v_fmamk_f16 v44, v66, 0x2de8, v39
	v_add_f16_e32 v41, v75, v59
	v_mul_f16_e32 v59, 0x2de8, v67
	v_fma_f16 v39, v66, 0x2de8, -v39
	v_fmac_f16_e32 v62, v45, v42
	s_waitcnt lgkmcnt(5)
	v_mul_f16_sdwa v67, v16, v43 dst_sel:DWORD dst_unused:UNUSED_PAD src0_sel:DWORD src1_sel:WORD_1
	v_add_f16_e32 v42, v12, v51
	v_add_f16_e32 v51, v44, v61
	s_waitcnt lgkmcnt(4)
	v_lshrrev_b32_e32 v61, 16, v17
	v_fmamk_f16 v65, v63, 0xbbf7, v59
	v_fmac_f16_e32 v59, 0x3bf7, v63
	s_waitcnt lgkmcnt(3)
	v_mul_f16_sdwa v63, v17, v60 dst_sel:DWORD dst_unused:UNUSED_PAD src0_sel:DWORD src1_sel:WORD_1
	v_add_f16_e32 v45, v39, v68
	v_add_nc_u32_e32 v39, v53, v13
	v_lshrrev_b32_e32 v53, 8, v53
	v_mul_f16_sdwa v12, v62, v43 dst_sel:DWORD dst_unused:UNUSED_PAD src0_sel:DWORD src1_sel:WORD_1
	v_fmac_f16_e32 v67, v43, v62
	v_mul_f16_sdwa v62, v61, v60 dst_sel:DWORD dst_unused:UNUSED_PAD src0_sel:DWORD src1_sel:WORD_1
	v_fmac_f16_e32 v63, v61, v60
	v_lshrrev_b32_e32 v61, 3, v39
	v_and_b32_e32 v53, 0x7c, v53
	v_add_f16_e32 v44, v65, v64
	v_fma_f16 v17, v17, v60, -v62
	v_and_b32_e32 v62, 31, v39
	v_and_b32_e32 v61, 0x7c, v61
	v_add_nc_u32_e32 v53, s10, v53
	v_lshrrev_b32_e32 v64, 8, v39
	v_add_nc_u32_e32 v39, v39, v13
	v_lshl_add_u32 v62, v62, 2, 0
	v_add_nc_u32_e32 v61, s10, v61
	ds_read_b32 v53, v53 offset:256
	ds_read_b32 v62, v62 offset:8092
	v_lshrrev_b32_e32 v65, 3, v39
	ds_read_b32 v61, v61 offset:128
	v_lshrrev_b32_e32 v66, 8, v39
	v_fma_f16 v16, v43, v16, -v12
	v_mul_f16_e32 v12, v0, v67
	v_add_f16_e32 v43, v59, v69
	v_mul_f16_e32 v59, v1, v67
	v_add_nc_u32_e32 v67, v39, v13
	v_and_b32_e32 v64, 0x7c, v64
	s_waitcnt lgkmcnt(5)
	v_mul_f16_sdwa v60, v17, v54 dst_sel:DWORD dst_unused:UNUSED_PAD src0_sel:DWORD src1_sel:WORD_1
	v_and_b32_e32 v39, 31, v39
	v_and_b32_e32 v65, 0x7c, v65
	;; [unrolled: 1-line block ×4, first 2 shown]
	v_add_nc_u32_e32 v64, s10, v64
	v_fmac_f16_e32 v12, v1, v16
	v_mul_f16_sdwa v1, v63, v54 dst_sel:DWORD dst_unused:UNUSED_PAD src0_sel:DWORD src1_sel:WORD_1
	v_fmac_f16_e32 v60, v54, v63
	s_waitcnt lgkmcnt(4)
	v_lshrrev_b32_e32 v63, 16, v56
	v_lshl_add_u32 v39, v39, 2, 0
	v_add_nc_u32_e32 v65, s10, v65
	v_add_nc_u32_e32 v66, s10, v66
	v_lshl_add_u32 v68, v68, 2, 0
	ds_read_b32 v64, v64 offset:256
	ds_read_b32 v69, v39 offset:8092
	;; [unrolled: 1-line block ×5, first 2 shown]
	s_waitcnt lgkmcnt(6)
	v_lshrrev_b32_e32 v39, 16, v62
	v_fma_f16 v17, v54, v17, -v1
	v_mul_f16_sdwa v54, v63, v55 dst_sel:DWORD dst_unused:UNUSED_PAD src0_sel:DWORD src1_sel:WORD_1
	v_fma_f16 v0, v0, v16, -v59
	v_mul_f16_sdwa v59, v56, v55 dst_sel:DWORD dst_unused:UNUSED_PAD src0_sel:DWORD src1_sel:WORD_1
	s_waitcnt lgkmcnt(5)
	v_mul_f16_sdwa v16, v39, v61 dst_sel:DWORD dst_unused:UNUSED_PAD src0_sel:DWORD src1_sel:WORD_1
	v_mul_f16_e32 v1, v15, v60
	v_fma_f16 v54, v56, v55, -v54
	v_mul_f16_sdwa v56, v62, v61 dst_sel:DWORD dst_unused:UNUSED_PAD src0_sel:DWORD src1_sel:WORD_1
	v_fmac_f16_e32 v59, v63, v55
	v_fma_f16 v62, v62, v61, -v16
	v_mul_f16_e32 v16, v70, v60
	v_mul_f16_sdwa v55, v54, v53 dst_sel:DWORD dst_unused:UNUSED_PAD src0_sel:DWORD src1_sel:WORD_1
	v_fmac_f16_e32 v56, v39, v61
	v_mul_f16_sdwa v39, v59, v53 dst_sel:DWORD dst_unused:UNUSED_PAD src0_sel:DWORD src1_sel:WORD_1
	s_waitcnt lgkmcnt(4)
	v_mul_f16_sdwa v60, v62, v64 dst_sel:DWORD dst_unused:UNUSED_PAD src0_sel:DWORD src1_sel:WORD_1
	v_fmac_f16_e32 v1, v70, v17
	v_fmac_f16_e32 v55, v53, v59
	v_fma_f16 v15, v15, v17, -v16
	v_mul_f16_sdwa v17, v56, v64 dst_sel:DWORD dst_unused:UNUSED_PAD src0_sel:DWORD src1_sel:WORD_1
	v_fmac_f16_e32 v60, v64, v56
	v_fma_f16 v39, v53, v54, -v39
	v_mul_f16_e32 v16, v72, v55
	v_mul_f16_e32 v53, v71, v55
	s_waitcnt lgkmcnt(3)
	v_lshrrev_b32_e32 v55, 16, v69
	s_waitcnt lgkmcnt(2)
	v_mul_f16_sdwa v56, v69, v65 dst_sel:DWORD dst_unused:UNUSED_PAD src0_sel:DWORD src1_sel:WORD_1
	v_lshrrev_b32_e32 v59, 3, v67
	v_fmac_f16_e32 v16, v71, v39
	v_fma_f16 v39, v72, v39, -v53
	v_mul_f16_sdwa v53, v55, v65 dst_sel:DWORD dst_unused:UNUSED_PAD src0_sel:DWORD src1_sel:WORD_1
	v_fmac_f16_e32 v56, v55, v65
	v_lshrrev_b32_e32 v55, 8, v67
	v_add_nc_u32_e32 v61, v67, v13
	v_and_b32_e32 v59, 0x7c, v59
	v_fma_f16 v53, v69, v65, -v53
	s_waitcnt lgkmcnt(0)
	v_lshrrev_b32_e32 v72, 16, v68
	v_and_b32_e32 v55, 0x7c, v55
	v_lshrrev_b32_e32 v63, 3, v61
	v_add_nc_u32_e32 v59, s10, v59
	v_and_b32_e32 v65, 31, v61
	v_lshrrev_b32_e32 v67, 8, v61
	v_add_nc_u32_e32 v55, s10, v55
	v_and_b32_e32 v63, 0x7c, v63
	ds_read_b32 v59, v59 offset:128
	v_lshl_add_u32 v65, v65, 2, 0
	v_add_nc_u32_e32 v61, v61, v13
	ds_read_b32 v55, v55 offset:256
	ds_read_b32 v65, v65 offset:8092
	v_add_nc_u32_e32 v63, s10, v63
	v_lshrrev_b32_e32 v69, 3, v61
	v_lshrrev_b32_e32 v70, 8, v61
	v_and_b32_e32 v67, 0x7c, v67
	v_and_b32_e32 v71, 31, v61
	ds_read_b32 v63, v63 offset:128
	v_and_b32_e32 v69, 0x7c, v69
	v_and_b32_e32 v70, 0x7c, v70
	v_add_nc_u32_e32 v67, s10, v67
	v_lshl_add_u32 v71, v71, 2, 0
	v_fma_f16 v54, v64, v62, -v17
	v_mul_f16_sdwa v62, v56, v66 dst_sel:DWORD dst_unused:UNUSED_PAD src0_sel:DWORD src1_sel:WORD_1
	v_mul_f16_sdwa v64, v53, v66 dst_sel:DWORD dst_unused:UNUSED_PAD src0_sel:DWORD src1_sel:WORD_1
	v_add_nc_u32_e32 v69, s10, v69
	s_waitcnt lgkmcnt(3)
	v_mul_f16_sdwa v75, v72, v59 dst_sel:DWORD dst_unused:UNUSED_PAD src0_sel:DWORD src1_sel:WORD_1
	v_add_nc_u32_e32 v70, s10, v70
	ds_read_b32 v67, v67 offset:256
	ds_read_b32 v71, v71 offset:8092
	;; [unrolled: 1-line block ×4, first 2 shown]
	v_mul_f16_e32 v17, v48, v60
	v_fmac_f16_e32 v64, v66, v56
	v_mul_f16_e32 v56, v73, v60
	v_fma_f16 v53, v66, v53, -v62
	v_mul_f16_sdwa v60, v68, v59 dst_sel:DWORD dst_unused:UNUSED_PAD src0_sel:DWORD src1_sel:WORD_1
	v_fma_f16 v62, v68, v59, -v75
	s_waitcnt lgkmcnt(5)
	v_lshrrev_b32_e32 v68, 16, v65
	v_fmac_f16_e32 v17, v73, v54
	v_mul_f16_e32 v66, v74, v64
	v_fma_f16 v48, v48, v54, -v56
	v_fmac_f16_e32 v60, v72, v59
	v_mul_f16_sdwa v54, v62, v55 dst_sel:DWORD dst_unused:UNUSED_PAD src0_sel:DWORD src1_sel:WORD_1
	s_waitcnt lgkmcnt(4)
	v_mul_f16_sdwa v56, v68, v63 dst_sel:DWORD dst_unused:UNUSED_PAD src0_sel:DWORD src1_sel:WORD_1
	v_fmac_f16_e32 v66, v46, v53
	v_mul_f16_e32 v46, v46, v64
	v_mul_f16_sdwa v59, v60, v55 dst_sel:DWORD dst_unused:UNUSED_PAD src0_sel:DWORD src1_sel:WORD_1
	v_fmac_f16_e32 v54, v55, v60
	v_mul_f16_sdwa v60, v65, v63 dst_sel:DWORD dst_unused:UNUSED_PAD src0_sel:DWORD src1_sel:WORD_1
	v_fma_f16 v56, v65, v63, -v56
	v_fma_f16 v46, v74, v53, -v46
	v_fma_f16 v53, v55, v62, -v59
	v_mul_f16_e32 v55, v49, v54
	v_fmac_f16_e32 v60, v68, v63
	s_waitcnt lgkmcnt(3)
	v_mul_f16_sdwa v59, v56, v67 dst_sel:DWORD dst_unused:UNUSED_PAD src0_sel:DWORD src1_sel:WORD_1
	v_mul_f16_e32 v54, v47, v54
	v_add_nc_u32_e32 v61, v61, v13
	v_fmac_f16_e32 v55, v47, v53
	v_mul_f16_sdwa v47, v60, v67 dst_sel:DWORD dst_unused:UNUSED_PAD src0_sel:DWORD src1_sel:WORD_1
	v_fmac_f16_e32 v59, v67, v60
	v_fma_f16 v49, v49, v53, -v54
	v_lshrrev_b32_e32 v53, 3, v61
	v_and_b32_e32 v60, 31, v61
	v_lshrrev_b32_e32 v54, 8, v61
	v_add_nc_u32_e32 v61, v61, v13
	v_fma_f16 v47, v67, v56, -v47
	v_and_b32_e32 v53, 0x7c, v53
	v_lshl_add_u32 v60, v60, 2, 0
	v_and_b32_e32 v54, 0x7c, v54
	v_add_nc_u32_e32 v63, v61, v13
	v_lshrrev_b32_e32 v64, 3, v61
	v_add_nc_u32_e32 v53, s10, v53
	ds_read_b32 v60, v60 offset:8092
	v_lshrrev_b32_e32 v65, 8, v61
	v_and_b32_e32 v61, 31, v61
	v_add_nc_u32_e32 v54, s10, v54
	ds_read_b32 v53, v53 offset:128
	v_lshrrev_b32_e32 v67, 3, v63
	v_and_b32_e32 v64, 0x7c, v64
	v_lshl_add_u32 v61, v61, 2, 0
	v_and_b32_e32 v65, 0x7c, v65
	v_and_b32_e32 v68, 31, v63
	v_and_b32_e32 v67, 0x7c, v67
	ds_read_b32 v54, v54 offset:256
	ds_read_b32 v61, v61 offset:8092
	v_add_nc_u32_e32 v64, s10, v64
	v_add_nc_u32_e32 v65, s10, v65
	v_mul_f16_e32 v56, v52, v59
	s_waitcnt lgkmcnt(6)
	v_lshrrev_b32_e32 v62, 16, v71
	v_lshl_add_u32 v68, v68, 2, 0
	v_add_nc_u32_e32 v67, s10, v67
	ds_read_b32 v64, v64 offset:128
	ds_read_b32 v65, v65 offset:256
	;; [unrolled: 1-line block ×4, first 2 shown]
	s_waitcnt lgkmcnt(7)
	v_lshrrev_b32_e32 v73, 16, v60
	v_mul_f16_sdwa v72, v62, v69 dst_sel:DWORD dst_unused:UNUSED_PAD src0_sel:DWORD src1_sel:WORD_1
	v_mul_f16_sdwa v74, v71, v69 dst_sel:DWORD dst_unused:UNUSED_PAD src0_sel:DWORD src1_sel:WORD_1
	v_fmac_f16_e32 v56, v50, v47
	v_mul_f16_e32 v50, v50, v59
	s_waitcnt lgkmcnt(6)
	v_mul_f16_sdwa v59, v73, v53 dst_sel:DWORD dst_unused:UNUSED_PAD src0_sel:DWORD src1_sel:WORD_1
	v_fma_f16 v71, v71, v69, -v72
	v_fmac_f16_e32 v74, v62, v69
	v_mul_f16_sdwa v69, v60, v53 dst_sel:DWORD dst_unused:UNUSED_PAD src0_sel:DWORD src1_sel:WORD_1
	v_fma_f16 v47, v52, v47, -v50
	v_fma_f16 v50, v60, v53, -v59
	v_mul_f16_sdwa v62, v71, v70 dst_sel:DWORD dst_unused:UNUSED_PAD src0_sel:DWORD src1_sel:WORD_1
	v_mul_f16_sdwa v52, v74, v70 dst_sel:DWORD dst_unused:UNUSED_PAD src0_sel:DWORD src1_sel:WORD_1
	v_fmac_f16_e32 v69, v73, v53
	s_waitcnt lgkmcnt(4)
	v_lshrrev_b32_e32 v53, 16, v61
	v_mul_f16_sdwa v59, v50, v54 dst_sel:DWORD dst_unused:UNUSED_PAD src0_sel:DWORD src1_sel:WORD_1
	v_fmac_f16_e32 v62, v70, v74
	v_fma_f16 v52, v70, v71, -v52
	v_mul_f16_sdwa v70, v69, v54 dst_sel:DWORD dst_unused:UNUSED_PAD src0_sel:DWORD src1_sel:WORD_1
	s_waitcnt lgkmcnt(3)
	v_mul_f16_sdwa v71, v53, v64 dst_sel:DWORD dst_unused:UNUSED_PAD src0_sel:DWORD src1_sel:WORD_1
	v_fmac_f16_e32 v59, v54, v69
	v_mul_f16_sdwa v69, v61, v64 dst_sel:DWORD dst_unused:UNUSED_PAD src0_sel:DWORD src1_sel:WORD_1
	v_mul_f16_e32 v60, v58, v62
	v_mul_f16_e32 v62, v57, v62
	v_fma_f16 v50, v54, v50, -v70
	v_fma_f16 v54, v61, v64, -v71
	v_fmac_f16_e32 v69, v53, v64
	v_fmac_f16_e32 v60, v57, v52
	v_fma_f16 v52, v58, v52, -v62
	v_add_nc_u32_e32 v58, v63, v13
	v_lshrrev_b32_e32 v62, 8, v63
	s_waitcnt lgkmcnt(2)
	v_mul_f16_sdwa v57, v69, v65 dst_sel:DWORD dst_unused:UNUSED_PAD src0_sel:DWORD src1_sel:WORD_1
	v_mul_f16_sdwa v53, v54, v65 dst_sel:DWORD dst_unused:UNUSED_PAD src0_sel:DWORD src1_sel:WORD_1
	v_mul_f16_e32 v61, v44, v59
	v_pack_b32_f16 v0, v12, v0
	v_and_b32_e32 v62, 0x7c, v62
	v_fma_f16 v54, v65, v54, -v57
	v_lshrrev_b32_e32 v57, 3, v58
	v_fmac_f16_e32 v53, v65, v69
	v_and_b32_e32 v65, 31, v58
	v_add_nc_u32_e32 v62, s10, v62
	v_lshrrev_b32_e32 v69, 8, v58
	v_and_b32_e32 v57, 0x7c, v57
	v_add_nc_u32_e32 v58, v58, v13
	v_lshl_add_u32 v65, v65, 2, 0
	ds_read_b32 v62, v62 offset:256
	ds_read_b32 v65, v65 offset:8092
	v_add_nc_u32_e32 v57, s10, v57
	v_and_b32_e32 v69, 0x7c, v69
	v_lshrrev_b32_e32 v70, 3, v58
	v_lshrrev_b32_e32 v71, 8, v58
	v_add_nc_u32_e32 v72, v58, v13
	ds_read_b32 v57, v57 offset:128
	v_and_b32_e32 v58, 31, v58
	v_fmac_f16_e32 v61, v51, v50
	v_mul_f16_e32 v51, v51, v59
	s_waitcnt lgkmcnt(4)
	v_lshrrev_b32_e32 v59, 16, v68
	v_add_nc_u32_e32 v69, s10, v69
	v_lshl_add_u32 v58, v58, 2, 0
	v_and_b32_e32 v70, 0x7c, v70
	v_and_b32_e32 v71, 0x7c, v71
	;; [unrolled: 1-line block ×3, first 2 shown]
	s_waitcnt lgkmcnt(3)
	v_mul_f16_sdwa v64, v59, v67 dst_sel:DWORD dst_unused:UNUSED_PAD src0_sel:DWORD src1_sel:WORD_1
	ds_read_b32 v69, v69 offset:256
	ds_read_b32 v58, v58 offset:8092
	v_add_nc_u32_e32 v70, s10, v70
	v_add_nc_u32_e32 v71, s10, v71
	v_lshl_add_u32 v73, v73, 2, 0
	v_fma_f16 v64, v68, v67, -v64
	v_mul_f16_sdwa v68, v68, v67 dst_sel:DWORD dst_unused:UNUSED_PAD src0_sel:DWORD src1_sel:WORD_1
	s_waitcnt lgkmcnt(3)
	v_lshrrev_b32_e32 v74, 16, v65
	ds_read_b32 v70, v70 offset:128
	ds_read_b32 v71, v71 offset:256
	ds_read_b32 v73, v73 offset:8092
	v_fma_f16 v44, v44, v50, -v51
	v_mul_f16_e32 v63, v43, v53
	v_fmac_f16_e32 v68, v59, v67
	s_waitcnt lgkmcnt(5)
	v_mul_f16_sdwa v50, v74, v57 dst_sel:DWORD dst_unused:UNUSED_PAD src0_sel:DWORD src1_sel:WORD_1
	v_mul_f16_sdwa v59, v64, v62 dst_sel:DWORD dst_unused:UNUSED_PAD src0_sel:DWORD src1_sel:WORD_1
	;; [unrolled: 1-line block ×3, first 2 shown]
	v_fmac_f16_e32 v63, v45, v54
	v_mul_f16_sdwa v51, v68, v62 dst_sel:DWORD dst_unused:UNUSED_PAD src0_sel:DWORD src1_sel:WORD_1
	v_fma_f16 v50, v65, v57, -v50
	v_fmac_f16_e32 v59, v62, v68
	v_mul_f16_e32 v45, v45, v53
	v_fmac_f16_e32 v67, v74, v57
	v_fma_f16 v51, v62, v64, -v51
	s_waitcnt lgkmcnt(3)
	v_lshrrev_b32_e32 v57, 16, v58
	v_mul_f16_sdwa v62, v50, v69 dst_sel:DWORD dst_unused:UNUSED_PAD src0_sel:DWORD src1_sel:WORD_1
	v_fma_f16 v43, v43, v54, -v45
	v_mul_f16_sdwa v45, v67, v69 dst_sel:DWORD dst_unused:UNUSED_PAD src0_sel:DWORD src1_sel:WORD_1
	s_waitcnt lgkmcnt(2)
	v_mul_f16_sdwa v64, v58, v70 dst_sel:DWORD dst_unused:UNUSED_PAD src0_sel:DWORD src1_sel:WORD_1
	v_mul_f16_sdwa v54, v57, v70 dst_sel:DWORD dst_unused:UNUSED_PAD src0_sel:DWORD src1_sel:WORD_1
	v_fmac_f16_e32 v62, v69, v67
	v_mul_f16_e32 v53, v42, v59
	v_fma_f16 v45, v69, v50, -v45
	v_fmac_f16_e32 v64, v57, v70
	v_fma_f16 v50, v58, v70, -v54
	v_mul_f16_e32 v54, v40, v62
	v_mul_f16_e32 v57, v14, v62
	v_fmac_f16_e32 v53, v41, v51
	v_mul_f16_e32 v41, v41, v59
	s_waitcnt lgkmcnt(0)
	v_lshrrev_b32_e32 v58, 16, v73
	v_fmac_f16_e32 v54, v14, v45
	v_fma_f16 v40, v40, v45, -v57
	v_lshrrev_b32_e32 v45, 3, v72
	v_mul_f16_sdwa v14, v64, v71 dst_sel:DWORD dst_unused:UNUSED_PAD src0_sel:DWORD src1_sel:WORD_1
	v_fma_f16 v41, v42, v51, -v41
	v_mul_f16_sdwa v42, v50, v71 dst_sel:DWORD dst_unused:UNUSED_PAD src0_sel:DWORD src1_sel:WORD_1
	v_lshrrev_b32_e32 v51, 8, v72
	v_and_b32_e32 v45, 0x7c, v45
	v_fma_f16 v14, v71, v50, -v14
	v_add_nc_u32_e32 v50, v72, v13
	v_fmac_f16_e32 v42, v71, v64
	v_and_b32_e32 v51, 0x7c, v51
	v_add_nc_u32_e32 v45, s10, v45
	v_pack_b32_f16 v1, v1, v15
	v_add_nc_u32_e32 v64, v50, v13
	v_lshrrev_b32_e32 v62, 3, v50
	v_and_b32_e32 v59, 31, v50
	ds_read_b32 v45, v45 offset:128
	v_lshrrev_b32_e32 v50, 8, v50
	v_lshrrev_b32_e32 v65, 3, v64
	;; [unrolled: 1-line block ×3, first 2 shown]
	v_add_nc_u32_e32 v51, s10, v51
	v_and_b32_e32 v62, 0x7c, v62
	v_and_b32_e32 v50, 0x7c, v50
	;; [unrolled: 1-line block ×4, first 2 shown]
	ds_read_b32 v51, v51 offset:256
	v_and_b32_e32 v67, 0x7c, v67
	v_lshl_add_u32 v59, v59, 2, 0
	v_add_nc_u32_e32 v13, v64, v13
	v_add_nc_u32_e32 v62, s10, v62
	;; [unrolled: 1-line block ×3, first 2 shown]
	v_lshl_add_u32 v68, v68, 2, 0
	v_add_nc_u32_e32 v65, s10, v65
	v_add_nc_u32_e32 v67, s10, v67
	v_mul_f16_e32 v57, v10, v42
	ds_read_b32 v59, v59 offset:8092
	ds_read_b32 v62, v62 offset:128
	;; [unrolled: 1-line block ×6, first 2 shown]
	v_lshrrev_b32_e32 v69, 3, v13
	v_and_b32_e32 v70, 31, v13
	s_waitcnt lgkmcnt(7)
	v_mul_f16_sdwa v68, v58, v45 dst_sel:DWORD dst_unused:UNUSED_PAD src0_sel:DWORD src1_sel:WORD_1
	v_fmac_f16_e32 v57, v11, v14
	v_mul_f16_sdwa v71, v73, v45 dst_sel:DWORD dst_unused:UNUSED_PAD src0_sel:DWORD src1_sel:WORD_1
	v_and_b32_e32 v69, 0x7c, v69
	v_mul_f16_e32 v11, v11, v42
	v_lshl_add_u32 v42, v70, 2, 0
	v_fma_f16 v68, v73, v45, -v68
	v_fmac_f16_e32 v71, v58, v45
	v_add_nc_u32_e32 v58, s10, v69
	v_lshrrev_b32_e32 v13, 8, v13
	ds_read_b32 v42, v42 offset:8092
	s_waitcnt lgkmcnt(7)
	v_mul_f16_sdwa v45, v68, v51 dst_sel:DWORD dst_unused:UNUSED_PAD src0_sel:DWORD src1_sel:WORD_1
	v_mul_f16_sdwa v69, v71, v51 dst_sel:DWORD dst_unused:UNUSED_PAD src0_sel:DWORD src1_sel:WORD_1
	ds_read_b32 v58, v58 offset:128
	s_waitcnt lgkmcnt(7)
	v_lshrrev_b32_e32 v70, 16, v59
	v_and_b32_e32 v13, 0x7c, v13
	v_fmac_f16_e32 v45, v51, v71
	v_fma_f16 v51, v51, v68, -v69
	s_waitcnt lgkmcnt(6)
	v_mul_f16_sdwa v71, v59, v62 dst_sel:DWORD dst_unused:UNUSED_PAD src0_sel:DWORD src1_sel:WORD_1
	v_mul_f16_sdwa v69, v70, v62 dst_sel:DWORD dst_unused:UNUSED_PAD src0_sel:DWORD src1_sel:WORD_1
	v_add_nc_u32_e32 v13, s10, v13
	v_mul_f16_e32 v68, v8, v45
	v_fma_f16 v10, v10, v14, -v11
	v_fmac_f16_e32 v71, v70, v62
	v_fma_f16 v11, v59, v62, -v69
	ds_read_b32 v13, v13 offset:256
	v_fmac_f16_e32 v68, v9, v51
	v_mul_f16_e32 v9, v9, v45
	s_waitcnt lgkmcnt(5)
	v_lshrrev_b32_e32 v14, 16, v64
	v_mul_f16_sdwa v45, v11, v50 dst_sel:DWORD dst_unused:UNUSED_PAD src0_sel:DWORD src1_sel:WORD_1
	v_mul_f16_sdwa v59, v71, v50 dst_sel:DWORD dst_unused:UNUSED_PAD src0_sel:DWORD src1_sel:WORD_1
	s_waitcnt lgkmcnt(2)
	v_lshrrev_b32_e32 v62, 16, v42
	v_fma_f16 v8, v8, v51, -v9
	v_mul_f16_sdwa v9, v14, v65 dst_sel:DWORD dst_unused:UNUSED_PAD src0_sel:DWORD src1_sel:WORD_1
	v_fmac_f16_e32 v45, v50, v71
	v_fma_f16 v11, v50, v11, -v59
	s_waitcnt lgkmcnt(1)
	v_mul_f16_sdwa v50, v62, v58 dst_sel:DWORD dst_unused:UNUSED_PAD src0_sel:DWORD src1_sel:WORD_1
	v_mul_f16_sdwa v51, v64, v65 dst_sel:DWORD dst_unused:UNUSED_PAD src0_sel:DWORD src1_sel:WORD_1
	v_fma_f16 v9, v64, v65, -v9
	v_mul_f16_sdwa v64, v42, v58 dst_sel:DWORD dst_unused:UNUSED_PAD src0_sel:DWORD src1_sel:WORD_1
	v_mul_f16_e32 v59, v6, v45
	v_fma_f16 v42, v42, v58, -v50
	v_fmac_f16_e32 v51, v14, v65
	v_mul_f16_sdwa v14, v9, v67 dst_sel:DWORD dst_unused:UNUSED_PAD src0_sel:DWORD src1_sel:WORD_1
	v_fmac_f16_e32 v64, v62, v58
	v_fmac_f16_e32 v59, v7, v11
	s_waitcnt lgkmcnt(0)
	v_mul_f16_sdwa v50, v42, v13 dst_sel:DWORD dst_unused:UNUSED_PAD src0_sel:DWORD src1_sel:WORD_1
	v_mul_f16_sdwa v58, v51, v67 dst_sel:DWORD dst_unused:UNUSED_PAD src0_sel:DWORD src1_sel:WORD_1
	v_fmac_f16_e32 v14, v67, v51
	v_mul_f16_e32 v7, v7, v45
	v_mul_f16_sdwa v45, v64, v13 dst_sel:DWORD dst_unused:UNUSED_PAD src0_sel:DWORD src1_sel:WORD_1
	v_fmac_f16_e32 v50, v13, v64
	v_fma_f16 v9, v67, v9, -v58
	v_mul_f16_e32 v51, v5, v14
	v_mul_f16_e32 v14, v4, v14
	v_fma_f16 v13, v13, v42, -v45
	v_mul_f16_e32 v42, v3, v50
	v_mul_f16_e32 v45, v2, v50
	v_fmac_f16_e32 v51, v4, v9
	v_fma_f16 v4, v5, v9, -v14
	v_pack_b32_f16 v5, v17, v48
	v_fmac_f16_e32 v42, v2, v13
	v_fma_f16 v2, v3, v13, -v45
	v_pack_b32_f16 v3, v16, v39
	v_fma_f16 v6, v6, v11, -v7
	v_pack_b32_f16 v7, v66, v46
	v_pack_b32_f16 v9, v55, v49
	;; [unrolled: 1-line block ×4, first 2 shown]
	s_barrier
	buffer_gl0_inv
	ds_write2_b32 v38, v0, v1 offset1:17
	ds_write2_b32 v38, v3, v5 offset0:34 offset1:51
	ds_write2_b32 v38, v7, v9 offset0:68 offset1:85
	;; [unrolled: 1-line block ×3, first 2 shown]
	v_pack_b32_f16 v0, v61, v44
	v_pack_b32_f16 v1, v63, v43
	;; [unrolled: 1-line block ×9, first 2 shown]
	ds_write2_b32 v38, v0, v1 offset0:136 offset1:153
	ds_write2_b32 v38, v3, v5 offset0:170 offset1:187
	;; [unrolled: 1-line block ×4, first 2 shown]
	ds_write_b32 v38, v2 offset:1088
	s_waitcnt lgkmcnt(0)
	s_barrier
	buffer_gl0_inv
	s_and_saveexec_b32 s10, s9
	s_cbranch_execz .LBB0_18
; %bb.17:
	v_mad_u64_u32 v[0:1], null, s2, v36, 0
	v_mad_u64_u32 v[2:3], null, s0, v34, 0
	s_mul_i32 s2, s7, s8
	s_mul_hi_u32 s7, s6, s8
	s_mul_i32 s6, s6, s8
	s_add_i32 s7, s7, s2
	v_mad_u64_u32 v[12:13], null, s0, v31, 0
	v_mad_u64_u32 v[4:5], null, s3, v36, v[1:2]
	s_lshl_b64 s[2:3], s[6:7], 2
	s_add_u32 s6, s18, s2
	s_addc_u32 s7, s19, s3
	s_lshl_b64 s[2:3], s[4:5], 2
	v_mad_u64_u32 v[5:6], null, s1, v34, v[3:4]
	v_add3_u32 v34, 0, v37, v35
	v_mov_b32_e32 v1, v4
	v_mad_u64_u32 v[6:7], null, s0, v33, 0
	s_add_u32 s2, s6, s2
	ds_read2_b32 v[8:9], v34 offset1:17
	v_mov_b32_e32 v3, v5
	v_mad_u64_u32 v[4:5], null, s0, v32, 0
	v_lshlrev_b64 v[0:1], 2, v[0:1]
	s_addc_u32 s3, s7, s3
	s_waitcnt lgkmcnt(0)
	v_mad_u64_u32 v[10:11], null, s1, v33, v[7:8]
	v_add_co_u32 v33, vcc_lo, s2, v0
	v_add_co_ci_u32_e32 v35, vcc_lo, s3, v1, vcc_lo
	v_lshlrev_b64 v[0:1], 2, v[2:3]
	v_mad_u64_u32 v[2:3], null, s1, v32, v[5:6]
	v_mov_b32_e32 v7, v10
	v_mad_u64_u32 v[10:11], null, s0, v30, 0
	v_add_co_u32 v0, vcc_lo, v33, v0
	v_lshlrev_b64 v[6:7], 2, v[6:7]
	v_mov_b32_e32 v5, v2
	ds_read2_b32 v[2:3], v34 offset0:34 offset1:51
	v_add_co_ci_u32_e32 v1, vcc_lo, v35, v1, vcc_lo
	v_mad_u64_u32 v[14:15], null, s1, v30, v[11:12]
	v_lshlrev_b64 v[4:5], 2, v[4:5]
	v_add_co_u32 v6, vcc_lo, v33, v6
	v_add_co_ci_u32_e32 v7, vcc_lo, v35, v7, vcc_lo
	global_store_dword v[0:1], v8, off
	global_store_dword v[6:7], v9, off
	v_mad_u64_u32 v[15:16], null, s1, v31, v[13:14]
	v_mad_u64_u32 v[16:17], null, s0, v29, 0
	v_add_co_u32 v4, vcc_lo, v33, v4
	v_add_co_ci_u32_e32 v5, vcc_lo, v35, v5, vcc_lo
	v_mov_b32_e32 v11, v14
	v_mov_b32_e32 v13, v15
	;; [unrolled: 1-line block ×3, first 2 shown]
	s_waitcnt lgkmcnt(0)
	global_store_dword v[4:5], v2, off
	ds_read2_b32 v[7:8], v34 offset0:68 offset1:85
	v_lshlrev_b64 v[1:2], 2, v[10:11]
	v_lshlrev_b64 v[9:10], 2, v[12:13]
	v_mad_u64_u32 v[11:12], null, s0, v27, 0
	v_mad_u64_u32 v[4:5], null, s1, v29, v[0:1]
	v_mad_u64_u32 v[5:6], null, s0, v28, 0
	v_add_co_u32 v0, vcc_lo, v33, v1
	v_add_co_ci_u32_e32 v1, vcc_lo, v35, v2, vcc_lo
	v_mov_b32_e32 v17, v4
	v_add_co_u32 v9, vcc_lo, v33, v9
	v_mov_b32_e32 v2, v6
	v_add_co_ci_u32_e32 v10, vcc_lo, v35, v10, vcc_lo
	v_lshlrev_b64 v[13:14], 2, v[16:17]
	global_store_dword v[0:1], v3, off
	v_mad_u64_u32 v[15:16], null, s1, v28, v[2:3]
	v_mov_b32_e32 v2, v12
	v_mad_u64_u32 v[16:17], null, s0, v26, 0
	v_add_co_u32 v12, vcc_lo, v33, v13
	v_add_co_ci_u32_e32 v13, vcc_lo, v35, v14, vcc_lo
	s_waitcnt lgkmcnt(0)
	global_store_dword v[9:10], v7, off
	global_store_dword v[12:13], v8, off
	v_mad_u64_u32 v[27:28], null, s1, v27, v[2:3]
	ds_read2_b32 v[1:2], v34 offset0:102 offset1:119
	v_mov_b32_e32 v6, v15
	v_mov_b32_e32 v0, v17
	;; [unrolled: 1-line block ×3, first 2 shown]
	v_lshlrev_b64 v[3:4], 2, v[5:6]
	v_lshlrev_b64 v[8:9], 2, v[11:12]
	v_mad_u64_u32 v[10:11], null, s0, v25, 0
	v_add_co_u32 v3, vcc_lo, v33, v3
	v_add_co_ci_u32_e32 v4, vcc_lo, v35, v4, vcc_lo
	ds_read2_b32 v[12:13], v34 offset0:136 offset1:153
	s_waitcnt lgkmcnt(1)
	v_mad_u64_u32 v[5:6], null, s1, v26, v[0:1]
	v_mad_u64_u32 v[6:7], null, s0, v24, 0
	v_mov_b32_e32 v17, v5
	v_mov_b32_e32 v5, v11
	v_mov_b32_e32 v0, v7
	v_add_co_u32 v7, vcc_lo, v33, v8
	v_add_co_ci_u32_e32 v8, vcc_lo, v35, v9, vcc_lo
	global_store_dword v[3:4], v1, off
	global_store_dword v[7:8], v2, off
	v_lshlrev_b64 v[14:15], 2, v[16:17]
	v_mad_u64_u32 v[16:17], null, s1, v24, v[0:1]
	ds_read2_b32 v[1:2], v34 offset0:170 offset1:187
	v_mad_u64_u32 v[24:25], null, s1, v25, v[5:6]
	v_mad_u64_u32 v[25:26], null, s0, v23, 0
	v_add_co_u32 v14, vcc_lo, v33, v14
	v_mov_b32_e32 v7, v16
	v_add_co_ci_u32_e32 v15, vcc_lo, v35, v15, vcc_lo
	v_mov_b32_e32 v11, v24
	v_mov_b32_e32 v0, v26
	v_lshlrev_b64 v[3:4], 2, v[6:7]
	s_waitcnt lgkmcnt(1)
	global_store_dword v[14:15], v12, off
	v_lshlrev_b64 v[5:6], 2, v[10:11]
	v_mad_u64_u32 v[10:11], null, s0, v21, 0
	v_add_co_u32 v3, vcc_lo, v33, v3
	s_waitcnt lgkmcnt(0)
	v_mad_u64_u32 v[7:8], null, s1, v23, v[0:1]
	v_mad_u64_u32 v[8:9], null, s0, v22, 0
	v_add_co_ci_u32_e32 v4, vcc_lo, v35, v4, vcc_lo
	v_add_co_u32 v5, vcc_lo, v33, v5
	v_add_co_ci_u32_e32 v6, vcc_lo, v35, v6, vcc_lo
	v_mov_b32_e32 v26, v7
	v_mov_b32_e32 v0, v9
	global_store_dword v[3:4], v13, off
	global_store_dword v[5:6], v1, off
	v_mad_u64_u32 v[5:6], null, s0, v20, 0
	v_lshlrev_b64 v[3:4], 2, v[25:26]
	v_mad_u64_u32 v[0:1], null, s1, v22, v[0:1]
	v_mov_b32_e32 v1, v11
	v_add_co_u32 v3, vcc_lo, v33, v3
	v_mad_u64_u32 v[11:12], null, s1, v21, v[1:2]
	v_mov_b32_e32 v1, v6
	v_add_co_ci_u32_e32 v4, vcc_lo, v35, v4, vcc_lo
	v_mov_b32_e32 v9, v0
	v_mad_u64_u32 v[12:13], null, s0, v19, 0
	v_mad_u64_u32 v[0:1], null, s1, v20, v[1:2]
	global_store_dword v[3:4], v2, off
	ds_read2_b32 v[1:2], v34 offset0:204 offset1:221
	v_lshlrev_b64 v[3:4], 2, v[8:9]
	v_mad_u64_u32 v[8:9], null, s0, v18, 0
	v_mov_b32_e32 v7, v13
	v_mov_b32_e32 v6, v0
	v_add_co_u32 v3, vcc_lo, v33, v3
	v_add_co_ci_u32_e32 v4, vcc_lo, v35, v4, vcc_lo
	v_mov_b32_e32 v0, v9
	v_mad_u64_u32 v[13:14], null, s1, v19, v[7:8]
	v_lshlrev_b64 v[9:10], 2, v[10:11]
	ds_read2_b32 v[14:15], v34 offset0:238 offset1:255
	v_lshlrev_b64 v[5:6], 2, v[5:6]
	s_waitcnt lgkmcnt(1)
	v_mad_u64_u32 v[16:17], null, s1, v18, v[0:1]
	ds_read_b32 v0, v34 offset:1088
	v_add_co_u32 v17, vcc_lo, v33, v9
	v_add_co_ci_u32_e32 v18, vcc_lo, v35, v10, vcc_lo
	v_lshlrev_b64 v[10:11], 2, v[12:13]
	v_mov_b32_e32 v9, v16
	v_add_co_u32 v5, vcc_lo, v33, v5
	v_add_co_ci_u32_e32 v6, vcc_lo, v35, v6, vcc_lo
	v_lshlrev_b64 v[7:8], 2, v[8:9]
	v_add_co_u32 v9, vcc_lo, v33, v10
	v_add_co_ci_u32_e32 v10, vcc_lo, v35, v11, vcc_lo
	v_add_co_u32 v7, vcc_lo, v33, v7
	v_add_co_ci_u32_e32 v8, vcc_lo, v35, v8, vcc_lo
	global_store_dword v[3:4], v1, off
	global_store_dword v[17:18], v2, off
	s_waitcnt lgkmcnt(1)
	global_store_dword v[5:6], v14, off
	global_store_dword v[9:10], v15, off
	s_waitcnt lgkmcnt(0)
	global_store_dword v[7:8], v0, off
.LBB0_18:
	s_endpgm
	.section	.rodata,"a",@progbits
	.p2align	6, 0x0
	.amdhsa_kernel fft_rtc_back_len289_factors_17_17_wgs_119_tpt_17_half_op_CI_CI_sbcc_twdbase5_3step
		.amdhsa_group_segment_fixed_size 0
		.amdhsa_private_segment_fixed_size 0
		.amdhsa_kernarg_size 112
		.amdhsa_user_sgpr_count 6
		.amdhsa_user_sgpr_private_segment_buffer 1
		.amdhsa_user_sgpr_dispatch_ptr 0
		.amdhsa_user_sgpr_queue_ptr 0
		.amdhsa_user_sgpr_kernarg_segment_ptr 1
		.amdhsa_user_sgpr_dispatch_id 0
		.amdhsa_user_sgpr_flat_scratch_init 0
		.amdhsa_user_sgpr_private_segment_size 0
		.amdhsa_wavefront_size32 1
		.amdhsa_uses_dynamic_stack 0
		.amdhsa_system_sgpr_private_segment_wavefront_offset 0
		.amdhsa_system_sgpr_workgroup_id_x 1
		.amdhsa_system_sgpr_workgroup_id_y 0
		.amdhsa_system_sgpr_workgroup_id_z 0
		.amdhsa_system_sgpr_workgroup_info 0
		.amdhsa_system_vgpr_workitem_id 0
		.amdhsa_next_free_vgpr 128
		.amdhsa_next_free_sgpr 57
		.amdhsa_reserve_vcc 1
		.amdhsa_reserve_flat_scratch 0
		.amdhsa_float_round_mode_32 0
		.amdhsa_float_round_mode_16_64 0
		.amdhsa_float_denorm_mode_32 3
		.amdhsa_float_denorm_mode_16_64 3
		.amdhsa_dx10_clamp 1
		.amdhsa_ieee_mode 1
		.amdhsa_fp16_overflow 0
		.amdhsa_workgroup_processor_mode 1
		.amdhsa_memory_ordered 1
		.amdhsa_forward_progress 0
		.amdhsa_shared_vgpr_count 0
		.amdhsa_exception_fp_ieee_invalid_op 0
		.amdhsa_exception_fp_denorm_src 0
		.amdhsa_exception_fp_ieee_div_zero 0
		.amdhsa_exception_fp_ieee_overflow 0
		.amdhsa_exception_fp_ieee_underflow 0
		.amdhsa_exception_fp_ieee_inexact 0
		.amdhsa_exception_int_div_zero 0
	.end_amdhsa_kernel
	.text
.Lfunc_end0:
	.size	fft_rtc_back_len289_factors_17_17_wgs_119_tpt_17_half_op_CI_CI_sbcc_twdbase5_3step, .Lfunc_end0-fft_rtc_back_len289_factors_17_17_wgs_119_tpt_17_half_op_CI_CI_sbcc_twdbase5_3step
                                        ; -- End function
	.section	.AMDGPU.csdata,"",@progbits
; Kernel info:
; codeLenInByte = 17956
; NumSgprs: 59
; NumVgprs: 128
; ScratchSize: 0
; MemoryBound: 0
; FloatMode: 240
; IeeeMode: 1
; LDSByteSize: 0 bytes/workgroup (compile time only)
; SGPRBlocks: 7
; VGPRBlocks: 15
; NumSGPRsForWavesPerEU: 59
; NumVGPRsForWavesPerEU: 128
; Occupancy: 8
; WaveLimiterHint : 1
; COMPUTE_PGM_RSRC2:SCRATCH_EN: 0
; COMPUTE_PGM_RSRC2:USER_SGPR: 6
; COMPUTE_PGM_RSRC2:TRAP_HANDLER: 0
; COMPUTE_PGM_RSRC2:TGID_X_EN: 1
; COMPUTE_PGM_RSRC2:TGID_Y_EN: 0
; COMPUTE_PGM_RSRC2:TGID_Z_EN: 0
; COMPUTE_PGM_RSRC2:TIDIG_COMP_CNT: 0
	.text
	.p2alignl 6, 3214868480
	.fill 48, 4, 3214868480
	.type	__hip_cuid_b6310f4ec0296604,@object ; @__hip_cuid_b6310f4ec0296604
	.section	.bss,"aw",@nobits
	.globl	__hip_cuid_b6310f4ec0296604
__hip_cuid_b6310f4ec0296604:
	.byte	0                               ; 0x0
	.size	__hip_cuid_b6310f4ec0296604, 1

	.ident	"AMD clang version 19.0.0git (https://github.com/RadeonOpenCompute/llvm-project roc-6.4.0 25133 c7fe45cf4b819c5991fe208aaa96edf142730f1d)"
	.section	".note.GNU-stack","",@progbits
	.addrsig
	.addrsig_sym __hip_cuid_b6310f4ec0296604
	.amdgpu_metadata
---
amdhsa.kernels:
  - .args:
      - .actual_access:  read_only
        .address_space:  global
        .offset:         0
        .size:           8
        .value_kind:     global_buffer
      - .address_space:  global
        .offset:         8
        .size:           8
        .value_kind:     global_buffer
      - .offset:         16
        .size:           8
        .value_kind:     by_value
      - .actual_access:  read_only
        .address_space:  global
        .offset:         24
        .size:           8
        .value_kind:     global_buffer
      - .actual_access:  read_only
        .address_space:  global
        .offset:         32
        .size:           8
        .value_kind:     global_buffer
      - .actual_access:  read_only
        .address_space:  global
        .offset:         40
        .size:           8
        .value_kind:     global_buffer
      - .offset:         48
        .size:           8
        .value_kind:     by_value
      - .actual_access:  read_only
        .address_space:  global
        .offset:         56
        .size:           8
        .value_kind:     global_buffer
      - .actual_access:  read_only
        .address_space:  global
        .offset:         64
        .size:           8
        .value_kind:     global_buffer
      - .offset:         72
        .size:           4
        .value_kind:     by_value
      - .actual_access:  read_only
        .address_space:  global
        .offset:         80
        .size:           8
        .value_kind:     global_buffer
      - .actual_access:  read_only
        .address_space:  global
        .offset:         88
        .size:           8
        .value_kind:     global_buffer
      - .actual_access:  read_only
        .address_space:  global
        .offset:         96
        .size:           8
        .value_kind:     global_buffer
      - .actual_access:  write_only
        .address_space:  global
        .offset:         104
        .size:           8
        .value_kind:     global_buffer
    .group_segment_fixed_size: 0
    .kernarg_segment_align: 8
    .kernarg_segment_size: 112
    .language:       OpenCL C
    .language_version:
      - 2
      - 0
    .max_flat_workgroup_size: 119
    .name:           fft_rtc_back_len289_factors_17_17_wgs_119_tpt_17_half_op_CI_CI_sbcc_twdbase5_3step
    .private_segment_fixed_size: 0
    .sgpr_count:     59
    .sgpr_spill_count: 0
    .symbol:         fft_rtc_back_len289_factors_17_17_wgs_119_tpt_17_half_op_CI_CI_sbcc_twdbase5_3step.kd
    .uniform_work_group_size: 1
    .uses_dynamic_stack: false
    .vgpr_count:     128
    .vgpr_spill_count: 0
    .wavefront_size: 32
    .workgroup_processor_mode: 1
amdhsa.target:   amdgcn-amd-amdhsa--gfx1030
amdhsa.version:
  - 1
  - 2
...

	.end_amdgpu_metadata
